;; amdgpu-corpus repo=ROCm/rocFFT kind=compiled arch=gfx1201 opt=O3
	.text
	.amdgcn_target "amdgcn-amd-amdhsa--gfx1201"
	.amdhsa_code_object_version 6
	.protected	bluestein_single_back_len833_dim1_half_op_CI_CI ; -- Begin function bluestein_single_back_len833_dim1_half_op_CI_CI
	.globl	bluestein_single_back_len833_dim1_half_op_CI_CI
	.p2align	8
	.type	bluestein_single_back_len833_dim1_half_op_CI_CI,@function
bluestein_single_back_len833_dim1_half_op_CI_CI: ; @bluestein_single_back_len833_dim1_half_op_CI_CI
; %bb.0:
	s_load_b128 s[8:11], s[0:1], 0x28
	v_mul_u32_u24_e32 v1, 0x227, v0
	s_mov_b32 s2, exec_lo
	v_mov_b32_e32 v9, 0
	s_delay_alu instid0(VALU_DEP_2) | instskip(NEXT) | instid1(VALU_DEP_1)
	v_lshrrev_b32_e32 v1, 16, v1
	v_add_nc_u32_e32 v8, ttmp9, v1
	s_wait_kmcnt 0x0
	s_delay_alu instid0(VALU_DEP_1)
	v_cmpx_gt_u64_e64 s[8:9], v[8:9]
	s_cbranch_execz .LBB0_15
; %bb.1:
	s_clause 0x1
	s_load_b64 s[8:9], s[0:1], 0x0
	s_load_b64 s[12:13], s[0:1], 0x38
	v_mul_lo_u16 v1, 0x77, v1
	s_delay_alu instid0(VALU_DEP_1) | instskip(NEXT) | instid1(VALU_DEP_1)
	v_sub_nc_u16 v0, v0, v1
	v_and_b32_e32 v30, 0xffff, v0
	v_cmp_gt_u16_e32 vcc_lo, 49, v0
	s_delay_alu instid0(VALU_DEP_2)
	v_lshlrev_b32_e32 v29, 2, v30
	s_and_saveexec_b32 s3, vcc_lo
	s_cbranch_execz .LBB0_3
; %bb.2:
	s_load_b64 s[4:5], s[0:1], 0x18
	s_wait_kmcnt 0x0
	s_load_b128 s[4:7], s[4:5], 0x0
	s_wait_kmcnt 0x0
	v_mad_co_u64_u32 v[0:1], null, s6, v8, 0
	v_mad_co_u64_u32 v[2:3], null, s4, v30, 0
	s_delay_alu instid0(VALU_DEP_1) | instskip(NEXT) | instid1(VALU_DEP_1)
	v_mad_co_u64_u32 v[4:5], null, s7, v8, v[1:2]
	v_mad_co_u64_u32 v[5:6], null, s5, v30, v[3:4]
	v_mov_b32_e32 v1, v4
	s_mul_u64 s[4:5], s[4:5], 0xc4
	s_clause 0x7
	global_load_b32 v6, v29, s[8:9]
	global_load_b32 v7, v29, s[8:9] offset:196
	global_load_b32 v9, v29, s[8:9] offset:392
	;; [unrolled: 1-line block ×7, first 2 shown]
	v_lshlrev_b64_e32 v[0:1], 2, v[0:1]
	v_mov_b32_e32 v3, v5
	s_delay_alu instid0(VALU_DEP_2) | instskip(NEXT) | instid1(VALU_DEP_2)
	v_add_co_u32 v0, s2, s10, v0
	v_lshlrev_b64_e32 v[2:3], 2, v[2:3]
	s_delay_alu instid0(VALU_DEP_4) | instskip(NEXT) | instid1(VALU_DEP_2)
	v_add_co_ci_u32_e64 v1, s2, s11, v1, s2
	v_add_co_u32 v0, s2, v0, v2
	s_wait_alu 0xf1ff
	s_delay_alu instid0(VALU_DEP_2)
	v_add_co_ci_u32_e64 v1, s2, v1, v3, s2
	global_load_b32 v15, v[0:1], off
	s_wait_alu 0xfffe
	v_add_co_u32 v0, s2, v0, s4
	s_wait_alu 0xf1ff
	v_add_co_ci_u32_e64 v1, s2, s5, v1, s2
	s_clause 0x7
	global_load_b32 v16, v29, s[8:9] offset:1568
	global_load_b32 v17, v29, s[8:9] offset:1764
	;; [unrolled: 1-line block ×8, first 2 shown]
	global_load_b32 v24, v[0:1], off
	v_add_co_u32 v0, s2, v0, s4
	s_wait_alu 0xf1ff
	v_add_co_ci_u32_e64 v1, s2, s5, v1, s2
	global_load_b32 v25, v29, s[8:9] offset:3136
	v_add_co_u32 v2, s2, v0, s4
	s_wait_alu 0xf1ff
	v_add_co_ci_u32_e64 v3, s2, s5, v1, s2
	global_load_b32 v26, v[0:1], off
	v_add_co_u32 v0, s2, v2, s4
	s_wait_alu 0xf1ff
	v_add_co_ci_u32_e64 v1, s2, s5, v3, s2
	s_clause 0x1
	global_load_b32 v27, v[2:3], off
	global_load_b32 v28, v[0:1], off
	v_add_co_u32 v0, s2, v0, s4
	s_wait_alu 0xf1ff
	v_add_co_ci_u32_e64 v1, s2, s5, v1, s2
	s_delay_alu instid0(VALU_DEP_2) | instskip(SKIP_1) | instid1(VALU_DEP_2)
	v_add_co_u32 v2, s2, v0, s4
	s_wait_alu 0xf1ff
	v_add_co_ci_u32_e64 v3, s2, s5, v1, s2
	global_load_b32 v31, v[0:1], off
	v_add_co_u32 v0, s2, v2, s4
	s_wait_alu 0xf1ff
	v_add_co_ci_u32_e64 v1, s2, s5, v3, s2
	global_load_b32 v32, v[2:3], off
	global_load_b32 v33, v[0:1], off
	v_add_co_u32 v0, s2, v0, s4
	s_wait_alu 0xf1ff
	v_add_co_ci_u32_e64 v1, s2, s5, v1, s2
	s_delay_alu instid0(VALU_DEP_2) | instskip(SKIP_1) | instid1(VALU_DEP_2)
	v_add_co_u32 v2, s2, v0, s4
	s_wait_alu 0xf1ff
	v_add_co_ci_u32_e64 v3, s2, s5, v1, s2
	global_load_b32 v34, v[0:1], off
	global_load_b32 v35, v[2:3], off
	v_add_co_u32 v0, s2, v2, s4
	s_wait_alu 0xf1ff
	v_add_co_ci_u32_e64 v1, s2, s5, v3, s2
	s_delay_alu instid0(VALU_DEP_2) | instskip(SKIP_1) | instid1(VALU_DEP_2)
	v_add_co_u32 v2, s2, v0, s4
	s_wait_alu 0xf1ff
	v_add_co_ci_u32_e64 v3, s2, s5, v1, s2
	global_load_b32 v36, v[0:1], off
	v_add_co_u32 v0, s2, v2, s4
	s_wait_alu 0xf1ff
	v_add_co_ci_u32_e64 v1, s2, s5, v3, s2
	global_load_b32 v37, v[2:3], off
	;; [unrolled: 4-line block ×4, first 2 shown]
	v_add_co_u32 v2, s2, v0, s4
	s_wait_alu 0xf1ff
	v_add_co_ci_u32_e64 v3, s2, s5, v1, s2
	s_delay_alu instid0(VALU_DEP_2) | instskip(SKIP_1) | instid1(VALU_DEP_2)
	v_add_co_u32 v4, s2, v2, s4
	s_wait_alu 0xf1ff
	v_add_co_ci_u32_e64 v5, s2, s5, v3, s2
	global_load_b32 v0, v[0:1], off
	global_load_b32 v1, v[2:3], off
	;; [unrolled: 1-line block ×3, first 2 shown]
	v_add_nc_u32_e32 v4, 0x600, v29
	v_add_nc_u32_e32 v3, 0x400, v29
	s_wait_loadcnt 0x21
	v_lshrrev_b32_e32 v5, 16, v6
	s_wait_loadcnt 0x20
	v_lshrrev_b32_e32 v40, 16, v7
	;; [unrolled: 2-line block ×11, first 2 shown]
	v_lshrrev_b32_e32 v52, 16, v15
	v_mul_f16_e32 v56, v5, v15
	s_wait_loadcnt 0x15
	v_lshrrev_b32_e32 v50, 16, v19
	s_wait_loadcnt 0x14
	v_lshrrev_b32_e32 v51, 16, v20
	;; [unrolled: 2-line block ×3, first 2 shown]
	v_mul_f16_e32 v5, v5, v52
	s_wait_loadcnt 0x10
	v_lshrrev_b32_e32 v57, 16, v24
	v_mul_f16_e32 v59, v40, v24
	v_fma_f16 v52, v6, v52, -v56
	v_lshrrev_b32_e32 v54, 16, v22
	v_fmac_f16_e32 v5, v6, v15
	v_mul_f16_e32 v6, v40, v57
	v_fma_f16 v40, v7, v57, -v59
	v_lshrrev_b32_e32 v55, 16, v23
	s_wait_loadcnt 0xf
	v_lshrrev_b32_e32 v58, 16, v25
	s_wait_loadcnt 0xe
	v_lshrrev_b32_e32 v15, 16, v26
	v_mul_f16_e32 v56, v41, v26
	v_fmac_f16_e32 v6, v7, v24
	v_pack_b32_f16 v5, v5, v52
	s_delay_alu instid0(VALU_DEP_4)
	v_mul_f16_e32 v7, v41, v15
	s_wait_loadcnt 0xd
	v_lshrrev_b32_e32 v24, 16, v27
	v_mul_f16_e32 v41, v42, v27
	v_fma_f16 v15, v9, v15, -v56
	v_pack_b32_f16 v6, v6, v40
	v_fmac_f16_e32 v7, v9, v26
	v_mul_f16_e32 v9, v42, v24
	s_wait_loadcnt 0xc
	v_lshrrev_b32_e32 v26, 16, v28
	v_fma_f16 v24, v10, v24, -v41
	v_mul_f16_e32 v40, v43, v28
	ds_store_2addr_b32 v29, v5, v6 offset1:49
	v_pack_b32_f16 v5, v7, v15
	v_fmac_f16_e32 v9, v10, v27
	v_mul_f16_e32 v6, v43, v26
	s_wait_loadcnt 0xb
	v_lshrrev_b32_e32 v7, 16, v31
	v_mul_f16_e32 v10, v44, v31
	v_fma_f16 v15, v11, v26, -v40
	v_pack_b32_f16 v9, v9, v24
	v_fmac_f16_e32 v6, v11, v28
	v_mul_f16_e32 v11, v44, v7
	v_fma_f16 v7, v12, v7, -v10
	s_wait_loadcnt 0xa
	v_lshrrev_b32_e32 v10, 16, v32
	v_mul_f16_e32 v24, v45, v32
	ds_store_2addr_b32 v29, v5, v9 offset0:98 offset1:147
	v_pack_b32_f16 v5, v6, v15
	v_fmac_f16_e32 v11, v12, v31
	v_mul_f16_e32 v6, v45, v10
	s_wait_loadcnt 0x9
	v_lshrrev_b32_e32 v9, 16, v33
	v_mul_f16_e32 v12, v46, v33
	v_fma_f16 v10, v13, v10, -v24
	v_pack_b32_f16 v7, v11, v7
	v_fmac_f16_e32 v6, v13, v32
	v_mul_f16_e32 v11, v46, v9
	v_fma_f16 v9, v14, v9, -v12
	s_wait_loadcnt 0x8
	v_lshrrev_b32_e32 v12, 16, v34
	v_mul_f16_e32 v13, v47, v34
	ds_store_2addr_b32 v29, v5, v7 offset0:196 offset1:245
	;; [unrolled: 15-line block ×3, first 2 shown]
	v_pack_b32_f16 v5, v6, v12
	v_fmac_f16_e32 v11, v17, v35
	v_mul_f16_e32 v6, v49, v10
	s_wait_loadcnt 0x5
	v_lshrrev_b32_e32 v9, 16, v37
	v_fma_f16 v10, v18, v10, -v13
	v_mul_f16_e32 v12, v50, v37
	s_wait_loadcnt 0x4
	v_lshrrev_b32_e32 v13, 16, v38
	v_fmac_f16_e32 v6, v18, v36
	v_pack_b32_f16 v7, v11, v7
	v_mul_f16_e32 v11, v50, v9
	v_fma_f16 v9, v19, v9, -v12
	v_mul_f16_e32 v12, v51, v38
	v_pack_b32_f16 v6, v6, v10
	v_mul_f16_e32 v10, v51, v13
	v_fmac_f16_e32 v11, v19, v37
	s_wait_loadcnt 0x3
	v_lshrrev_b32_e32 v14, 16, v39
	v_mul_f16_e32 v15, v53, v39
	v_fma_f16 v12, v20, v13, -v12
	v_fmac_f16_e32 v10, v20, v38
	v_pack_b32_f16 v9, v11, v9
	v_mul_f16_e32 v11, v53, v14
	v_fma_f16 v13, v21, v14, -v15
	s_wait_loadcnt 0x2
	v_lshrrev_b32_e32 v14, 16, v0
	v_mul_f16_e32 v15, v54, v0
	v_pack_b32_f16 v10, v10, v12
	s_wait_loadcnt 0x1
	v_lshrrev_b32_e32 v12, 16, v1
	s_wait_loadcnt 0x0
	v_lshrrev_b32_e32 v16, 16, v2
	v_mul_f16_e32 v17, v54, v14
	v_fma_f16 v14, v22, v14, -v15
	v_mul_f16_e32 v15, v55, v1
	v_mul_f16_e32 v18, v55, v12
	;; [unrolled: 1-line block ×4, first 2 shown]
	v_fmac_f16_e32 v11, v21, v39
	v_fmac_f16_e32 v17, v22, v0
	v_fma_f16 v0, v23, v12, -v15
	v_fmac_f16_e32 v18, v23, v1
	v_fmac_f16_e32 v19, v25, v2
	v_fma_f16 v1, v25, v16, -v20
	v_pack_b32_f16 v2, v11, v13
	v_add_nc_u32_e32 v11, 0x800, v29
	v_pack_b32_f16 v12, v17, v14
	v_pack_b32_f16 v0, v18, v0
	;; [unrolled: 1-line block ×3, first 2 shown]
	ds_store_2addr_b32 v3, v5, v7 offset0:136 offset1:185
	ds_store_2addr_b32 v4, v6, v9 offset0:106 offset1:155
	ds_store_2addr_b32 v11, v10, v2 offset0:76 offset1:125
	ds_store_2addr_b32 v11, v12, v0 offset0:174 offset1:223
	ds_store_b32 v29, v1 offset:3136
.LBB0_3:
	s_or_b32 exec_lo, exec_lo, s3
	s_clause 0x1
	s_load_b64 s[2:3], s[0:1], 0x20
	s_load_b64 s[0:1], s[0:1], 0x8
	global_wb scope:SCOPE_SE
	s_wait_dscnt 0x0
	s_wait_kmcnt 0x0
	s_barrier_signal -1
	s_barrier_wait -1
	global_inv scope:SCOPE_SE
                                        ; implicit-def: $vgpr0
                                        ; implicit-def: $vgpr20
                                        ; implicit-def: $vgpr48
                                        ; implicit-def: $vgpr6
                                        ; implicit-def: $vgpr47
                                        ; implicit-def: $vgpr46
                                        ; implicit-def: $vgpr2
                                        ; implicit-def: $vgpr45
                                        ; implicit-def: $vgpr44
                                        ; implicit-def: $vgpr4
                                        ; implicit-def: $vgpr43
                                        ; implicit-def: $vgpr28
                                        ; implicit-def: $vgpr17
                                        ; implicit-def: $vgpr27
                                        ; implicit-def: $vgpr49
                                        ; implicit-def: $vgpr24
                                        ; implicit-def: $vgpr50
                                        ; implicit-def: $vgpr51
                                        ; implicit-def: $vgpr22
                                        ; implicit-def: $vgpr52
                                        ; implicit-def: $vgpr53
                                        ; implicit-def: $vgpr26
                                        ; implicit-def: $vgpr54
                                        ; implicit-def: $vgpr55
                                        ; implicit-def: $vgpr56
	s_and_saveexec_b32 s4, vcc_lo
	s_cbranch_execz .LBB0_5
; %bb.4:
	v_add_nc_u32_e32 v2, 0x400, v29
	v_add_nc_u32_e32 v3, 0x600, v29
	;; [unrolled: 1-line block ×3, first 2 shown]
	ds_load_2addr_b32 v[0:1], v29 offset1:49
	ds_load_2addr_b32 v[25:26], v29 offset0:98 offset1:147
	ds_load_2addr_b32 v[21:22], v29 offset0:196 offset1:245
	;; [unrolled: 1-line block ×7, first 2 shown]
	ds_load_b32 v17, v29 offset:3136
	s_wait_dscnt 0x4
	v_lshrrev_b32_e32 v49, 16, v19
	v_lshrrev_b32_e32 v56, 16, v1
	;; [unrolled: 1-line block ×9, first 2 shown]
	s_wait_dscnt 0x3
	v_lshrrev_b32_e32 v47, 16, v6
	v_lshrrev_b32_e32 v46, 16, v7
	s_wait_dscnt 0x2
	v_lshrrev_b32_e32 v45, 16, v2
	v_lshrrev_b32_e32 v44, 16, v3
	;; [unrolled: 3-line block ×3, first 2 shown]
	s_wait_dscnt 0x0
	v_lshrrev_b32_e32 v27, 16, v17
.LBB0_5:
	s_wait_alu 0xfffe
	s_or_b32 exec_lo, exec_lo, s4
	s_delay_alu instid0(VALU_DEP_1)
	v_sub_f16_e32 v13, v56, v27
	v_add_f16_e32 v80, v17, v1
	v_sub_f16_e32 v15, v55, v28
	v_add_f16_e32 v76, v5, v25
	v_sub_f16_e32 v18, v54, v43
	v_mul_f16_e32 v57, 0xb964, v13
	v_mul_f16_e32 v59, 0xbb29, v13
	;; [unrolled: 1-line block ×5, first 2 shown]
	v_fmamk_f16 v9, v80, 0x39e9, v57
	v_fmamk_f16 v10, v80, 0x3722, v59
	;; [unrolled: 1-line block ×5, first 2 shown]
	v_add_f16_e32 v9, v9, v0
	v_mul_f16_e32 v60, 0xba62, v15
	v_mul_f16_e32 v63, 0xb1e1, v15
	;; [unrolled: 1-line block ×3, first 2 shown]
	v_add_f16_e32 v10, v10, v0
	v_add_f16_e32 v11, v11, v0
	;; [unrolled: 1-line block ×4, first 2 shown]
	v_fmamk_f16 v14, v76, 0xb8d2, v60
	v_fmamk_f16 v31, v76, 0xbbdd, v63
	v_add_f16_e32 v81, v4, v26
	v_mul_f16_e32 v61, 0xba62, v18
	v_fmamk_f16 v32, v76, 0xbacd, v72
	v_mul_f16_e32 v64, 0x31e1, v18
	v_add_f16_e32 v10, v14, v10
	v_add_f16_e32 v11, v31, v11
	v_fmamk_f16 v14, v81, 0xb8d2, v61
	v_add_f16_e32 v12, v32, v12
	v_mul_f16_e32 v67, 0x3bb2, v18
	v_mul_f16_e32 v75, 0x3964, v18
	v_fmamk_f16 v32, v81, 0xbbdd, v64
	v_sub_f16_e32 v31, v53, v44
	v_add_f16_e32 v9, v14, v9
	v_fmamk_f16 v14, v81, 0xb461, v67
	v_fmamk_f16 v33, v81, 0x39e9, v75
	v_add_f16_e32 v10, v32, v10
	v_add_f16_e32 v83, v3, v21
	v_mul_f16_e32 v65, 0xb1e1, v31
	v_mul_f16_e32 v69, 0x3bb2, v31
	;; [unrolled: 1-line block ×3, first 2 shown]
	v_sub_f16_e32 v32, v52, v45
	v_add_f16_e32 v11, v14, v11
	v_add_f16_e32 v12, v33, v12
	v_fmamk_f16 v14, v83, 0xbbdd, v65
	v_mul_f16_e32 v84, 0xbb29, v31
	v_fmamk_f16 v33, v83, 0xb461, v69
	v_fmamk_f16 v34, v83, 0x3b76, v71
	v_add_f16_e32 v88, v2, v22
	v_mul_f16_e32 v66, 0x3836, v32
	v_mul_f16_e32 v78, 0xbb29, v32
	v_fmamk_f16 v35, v83, 0x3722, v84
	v_add_f16_e32 v9, v14, v9
	v_add_f16_e32 v10, v33, v10
	;; [unrolled: 1-line block ×3, first 2 shown]
	v_fmamk_f16 v14, v88, 0xbacd, v66
	v_mul_f16_e32 v74, 0x3964, v32
	v_mul_f16_e32 v86, 0xb1e1, v32
	v_sub_f16_e32 v33, v51, v46
	v_fmamk_f16 v34, v88, 0x3722, v78
	v_add_f16_e32 v12, v35, v12
	v_add_f16_e32 v9, v14, v9
	v_fmamk_f16 v14, v88, 0x39e9, v74
	v_fmamk_f16 v35, v88, 0xbbdd, v86
	v_add_f16_e32 v91, v7, v23
	v_mul_f16_e32 v70, 0x3bb2, v33
	v_add_f16_e32 v11, v34, v11
	v_mul_f16_e32 v79, 0xb5c8, v33
	v_sub_f16_e32 v34, v50, v47
	v_add_f16_e32 v10, v14, v10
	v_add_f16_e32 v12, v35, v12
	v_fmamk_f16 v14, v91, 0xb461, v70
	v_fmamk_f16 v35, v91, 0x3b76, v79
	v_mul_f16_e32 v92, 0x3bf7, v33
	v_add_f16_e32 v93, v6, v24
	v_mul_f16_e32 v77, 0x3b29, v34
	v_mul_f16_e32 v87, 0xb836, v33
	v_add_f16_e32 v9, v14, v9
	v_add_f16_e32 v10, v35, v10
	v_fmamk_f16 v14, v91, 0x2de8, v92
	v_fmamk_f16 v35, v93, 0x3722, v77
	v_mul_f16_e32 v85, 0xbbf7, v34
	v_fmamk_f16 v36, v91, 0xbacd, v87
	v_mul_f16_e32 v89, 0x3a62, v34
	v_add_f16_e32 v12, v14, v12
	v_add_f16_e32 v9, v35, v9
	v_sub_f16_e32 v35, v49, v48
	v_fmamk_f16 v14, v93, 0x2de8, v85
	v_mul_f16_e32 v99, 0xb5c8, v34
	v_mul_f16_e32 v73, 0xba62, v13
	v_add_f16_e32 v11, v36, v11
	v_fmamk_f16 v36, v93, 0xb8d2, v89
	v_add_f16_e32 v97, v20, v19
	v_mul_f16_e32 v82, 0x35c8, v35
	v_add_f16_e32 v14, v14, v10
	v_fmamk_f16 v10, v93, 0x3b76, v99
	v_mul_f16_e32 v38, 0xb836, v13
	v_fmamk_f16 v16, v80, 0xb8d2, v73
	v_mul_f16_e32 v90, 0xb836, v35
	v_add_f16_e32 v11, v36, v11
	v_fmamk_f16 v36, v97, 0x3b76, v82
	v_add_f16_e32 v39, v10, v12
	v_mul_f16_e32 v109, 0x3bb2, v15
	v_fma_f16 v40, v80, 0xbacd, -v38
	v_fmac_f16_e32 v38, 0xbacd, v80
	v_mul_f16_e32 v12, 0x3b29, v15
	v_fmamk_f16 v37, v97, 0xbacd, v90
	v_add_f16_e32 v10, v36, v9
	v_add_f16_e32 v16, v16, v0
	v_fmamk_f16 v36, v76, 0xb461, v109
	v_add_f16_e32 v38, v38, v0
	v_fma_f16 v41, v76, 0x3722, -v12
	v_fmac_f16_e32 v12, 0x3722, v76
	v_mul_f16_e32 v111, 0xb5c8, v18
	v_mul_f16_e32 v42, 0xbbf7, v18
	v_add_f16_e32 v9, v37, v14
	v_add_f16_e32 v14, v36, v16
	;; [unrolled: 1-line block ×3, first 2 shown]
	v_fmamk_f16 v16, v81, 0x3b76, v111
	v_fma_f16 v36, v81, 0x2de8, -v42
	v_fmac_f16_e32 v42, 0x2de8, v81
	v_mul_f16_e32 v112, 0xb836, v31
	v_mul_f16_e32 v37, 0x3a62, v31
	v_add_f16_e32 v14, v16, v14
	v_mul_f16_e32 v114, 0x3bf7, v32
	v_add_f16_e32 v12, v42, v12
	v_fmamk_f16 v16, v83, 0xbacd, v112
	v_fma_f16 v42, v83, 0xb8d2, -v37
	v_fmac_f16_e32 v37, 0xb8d2, v83
	v_mul_f16_e32 v95, 0xb5c8, v32
	v_mul_f16_e32 v94, 0x3964, v35
	;; [unrolled: 1-line block ×3, first 2 shown]
	v_add_f16_e32 v14, v16, v14
	v_add_f16_e32 v16, v37, v12
	v_fmamk_f16 v37, v88, 0x2de8, v114
	v_fma_f16 v120, v88, 0x3b76, -v95
	v_fmac_f16_e32 v95, 0x3b76, v88
	v_mul_f16_e32 v110, 0xb964, v33
	v_fmamk_f16 v38, v97, 0x39e9, v94
	v_fmamk_f16 v96, v97, 0xb8d2, v102
	v_add_f16_e32 v14, v37, v14
	v_add_f16_e32 v16, v95, v16
	v_fmamk_f16 v37, v91, 0x39e9, v110
	v_mul_f16_e32 v95, 0xb1e1, v13
	v_mul_f16_e32 v98, 0xb1e1, v33
	v_add_f16_e32 v12, v38, v11
	v_add_f16_e32 v11, v96, v39
	v_add_f16_e32 v14, v37, v14
	v_fma_f16 v37, v80, 0xbbdd, -v95
	v_mul_f16_e32 v39, 0x35c8, v15
	v_fmac_f16_e32 v95, 0xbbdd, v80
	v_fma_f16 v38, v91, 0xbbdd, -v98
	v_fmac_f16_e32 v98, 0xbbdd, v91
	v_mul_f16_e32 v119, 0xb1e1, v34
	v_add_f16_e32 v37, v37, v0
	v_fma_f16 v100, v76, 0x3b76, -v39
	v_add_f16_e32 v95, v95, v0
	v_fmac_f16_e32 v39, 0x3b76, v76
	v_mul_f16_e32 v101, 0xb836, v18
	v_add_f16_e32 v16, v98, v16
	v_fmamk_f16 v96, v93, 0xbbdd, v119
	v_mul_f16_e32 v98, 0x3964, v34
	v_add_f16_e32 v37, v100, v37
	v_add_f16_e32 v39, v39, v95
	v_fma_f16 v95, v81, 0xbacd, -v101
	v_fmac_f16_e32 v101, 0xbacd, v81
	v_mul_f16_e32 v100, 0x3964, v31
	v_fma_f16 v131, v93, 0x39e9, -v98
	v_fmac_f16_e32 v98, 0x39e9, v93
	v_add_f16_e32 v14, v96, v14
	v_add_f16_e32 v37, v95, v37
	;; [unrolled: 1-line block ×3, first 2 shown]
	v_fma_f16 v95, v83, 0x39e9, -v100
	v_fmac_f16_e32 v100, 0x39e9, v83
	v_mul_f16_e32 v96, 0xba62, v32
	v_add_f16_e32 v16, v98, v16
	v_mul_f16_e32 v98, 0xbbb2, v35
	v_add_f16_e32 v37, v95, v37
	v_add_f16_e32 v39, v100, v39
	v_fma_f16 v95, v88, 0xb8d2, -v96
	v_fmac_f16_e32 v96, 0xb8d2, v88
	v_mul_f16_e32 v100, 0x3b29, v33
	v_fma_f16 v170, v97, 0xb461, -v98
	v_fmac_f16_e32 v98, 0xb461, v97
	v_add_f16_e32 v37, v95, v37
	v_add_f16_e32 v39, v96, v39
	v_fma_f16 v95, v91, 0x3722, -v100
	v_fmac_f16_e32 v100, 0x3722, v91
	v_mul_f16_e32 v96, 0xbbb2, v34
	v_mul_f16_e32 v121, 0x3b29, v35
	v_sub_f16_e32 v103, v1, v17
	v_add_f16_e32 v37, v95, v37
	v_add_f16_e32 v39, v100, v39
	v_fma_f16 v100, v93, 0xb461, -v96
	v_mul_f16_e32 v95, 0xb5c8, v13
	v_fmac_f16_e32 v96, 0xb461, v93
	v_add_f16_e32 v13, v98, v16
	v_mul_f16_e32 v16, 0x3bf7, v35
	v_fmamk_f16 v101, v97, 0x3722, v121
	v_fmamk_f16 v98, v80, 0x3b76, v95
	v_add_f16_e32 v39, v96, v39
	v_mul_f16_e32 v96, 0xb964, v15
	v_fma_f16 v15, v97, 0x2de8, -v16
	v_fmac_f16_e32 v16, 0x2de8, v97
	v_add_f16_e32 v14, v101, v14
	v_add_f16_e32 v37, v100, v37
	;; [unrolled: 1-line block ×3, first 2 shown]
	v_fmamk_f16 v101, v76, 0x39e9, v96
	v_add_f16_e32 v16, v16, v39
	v_add_f16_e64 v152, v27, v56
	v_mul_f16_e32 v98, 0xb5c8, v103
	v_sub_f16_e32 v39, v25, v5
	v_add_f16_e32 v15, v15, v37
	v_add_f16_e32 v37, v101, v100
	v_mul_f16_e32 v106, 0xb964, v103
	v_lshrrev_b32_e32 v101, 16, v0
	v_fma_f16 v104, v152, 0x3b76, -v98
	v_add_f16_e64 v139, v28, v55
	v_mul_f16_e32 v100, 0xb964, v39
	v_fma_f16 v107, v152, 0x39e9, -v106
	v_mul_f16_e32 v105, 0xbbf7, v39
	v_add_f16_e32 v104, v104, v101
	v_mul_f16_e32 v116, 0xbb29, v103
	v_fma_f16 v108, v139, 0x39e9, -v100
	v_mul_f16_e32 v125, 0xbbf7, v103
	v_mul_f16_e64 v136, 0xbbb2, v103
	v_add_f16_e32 v107, v107, v101
	v_fma_f16 v113, v139, 0x2de8, -v105
	v_fma_f16 v115, v152, 0x3722, -v116
	v_add_f16_e32 v108, v108, v104
	v_mul_f16_e32 v118, 0xba62, v39
	v_fma_f16 v104, v152, 0x2de8, -v125
	v_mul_f16_e64 v144, 0xba62, v103
	v_mul_f16_e32 v127, 0xb1e1, v39
	v_fma_f16 v117, v152, 0xb461, -v136
	v_mul_f16_e64 v137, 0x3836, v39
	v_add_f16_e32 v107, v113, v107
	v_add_f16_e32 v113, v115, v101
	v_fma_f16 v115, v139, 0xb8d2, -v118
	v_add_f16_e32 v104, v104, v101
	v_fma_f16 v122, v152, 0xb8d2, -v144
	v_mul_f16_e64 v146, 0x3bb2, v39
	v_fma_f16 v123, v139, 0xbbdd, -v127
	v_add_f16_e32 v117, v117, v101
	v_fma_f16 v124, v139, 0xbacd, -v137
	v_mul_f16_e64 v128, 0xb836, v103
	v_add_f16_e32 v122, v122, v101
	v_fma_f16 v126, v139, 0xb461, -v146
	v_add_f16_e32 v113, v115, v113
	v_add_f16_e32 v115, v123, v104
	;; [unrolled: 1-line block ×3, first 2 shown]
	v_fma_f16 v104, 0xbacd, v152, v128
	v_mul_f16_e32 v117, 0x3b29, v39
	v_fma_f16 v124, v152, 0xbacd, -v128
	v_mul_f16_e32 v103, 0xb1e1, v103
	v_add_f16_e32 v122, v126, v122
	v_add_f16_e32 v40, v40, v0
	;; [unrolled: 1-line block ×3, first 2 shown]
	v_fma_f16 v126, 0x3722, v139, v117
	v_add_f16_e32 v124, v124, v101
	v_fma_f16 v117, v139, 0x3722, -v117
	v_fma_f16 v128, 0xbbdd, v152, v103
	v_add_f16_e32 v40, v41, v40
	v_add_f16_e32 v41, v126, v104
	v_mul_f16_e32 v39, 0x35c8, v39
	v_add_f16_e32 v124, v117, v124
	v_add_f16_e64 v126, v128, v101
	v_sub_f16_e64 v128, v26, v4
	v_fma_f16 v117, v152, 0xbbdd, -v103
	v_fma_f16 v129, 0x3b76, v139, v39
	v_mul_f16_e32 v103, 0xbb29, v18
	v_add_f16_e64 v147, v43, v54
	v_mul_f16_e64 v104, 0xbb29, v128
	v_add_f16_e32 v18, v117, v101
	v_fma_f16 v39, v139, 0x3b76, -v39
	v_mul_f16_e64 v117, 0xba62, v128
	v_fma_f16 v130, 0x3722, v81, v103
	v_fma_f16 v132, v147, 0x3722, -v104
	v_add_f16_e64 v126, v129, v126
	v_add_f16_e32 v18, v39, v18
	v_fma_f16 v39, v147, 0xb8d2, -v117
	v_mul_f16_e64 v129, 0x31e1, v128
	v_add_f16_e64 v37, v130, v37
	v_add_f16_e64 v130, v132, v108
	v_mul_f16_e64 v135, 0x3bb2, v128
	v_add_f16_e32 v39, v39, v107
	v_fma_f16 v107, v147, 0xbbdd, -v129
	v_mul_f16_e64 v132, 0xbbf7, v128
	v_mul_f16_e64 v142, 0x3964, v128
	v_fma_f16 v108, v147, 0xb461, -v135
	v_mul_f16_e64 v154, 0xb5c8, v128
	v_add_f16_e32 v113, v107, v113
	v_fma_f16 v107, 0x2de8, v147, v132
	v_add_f16_e32 v36, v36, v40
	v_add_f16_e32 v115, v108, v115
	v_fma_f16 v108, v147, 0x2de8, -v132
	v_fma_f16 v133, v147, 0x39e9, -v142
	v_add_f16_e32 v40, v107, v41
	v_sub_f16_e32 v41, v21, v3
	v_fma_f16 v134, v147, 0x3b76, -v154
	v_mul_f16_e64 v128, 0xb836, v128
	v_add_f16_e64 v132, v108, v124
	v_mul_f16_e32 v107, 0xbbf7, v31
	v_add_f16_e64 v148, v44, v53
	v_mul_f16_e32 v108, 0xbbf7, v41
	v_add_f16_e64 v123, v133, v123
	v_add_f16_e64 v122, v134, v122
	v_fma_f16 v31, 0xbacd, v147, v128
	v_fma_f16 v128, v147, 0xbacd, -v128
	v_mul_f16_e32 v124, 0xb1e1, v41
	v_fma_f16 v133, 0x2de8, v83, v107
	v_fma_f16 v134, v148, 0x2de8, -v108
	v_mul_f16_e64 v140, 0x35c8, v41
	v_add_f16_e32 v31, v31, v126
	v_add_f16_e64 v18, v128, v18
	v_fma_f16 v126, v148, 0xbbdd, -v124
	v_add_f16_e64 v37, v133, v37
	v_add_f16_e64 v128, v134, v130
	v_mul_f16_e64 v133, 0x3bb2, v41
	v_fma_f16 v130, v148, 0x3b76, -v140
	v_mul_f16_e64 v134, 0x3a62, v41
	v_add_f16_e32 v39, v126, v39
	v_mul_f16_e64 v150, 0xbb29, v41
	v_fma_f16 v126, v148, 0xb461, -v133
	v_add_f16_e64 v130, v130, v115
	v_fma_f16 v115, v148, 0xb8d2, -v134
	v_add_f16_e32 v36, v42, v36
	v_sub_f16_e32 v42, v22, v2
	v_mul_f16_e64 v160, 0xb836, v41
	v_fma_f16 v138, v148, 0x3722, -v150
	v_add_f16_e32 v126, v126, v113
	v_fma_f16 v113, 0xb8d2, v148, v134
	v_mul_f16_e32 v41, 0x3964, v41
	v_add_f16_e64 v132, v115, v132
	v_add_f16_e64 v153, v45, v52
	v_mul_f16_e32 v115, 0xbbb2, v42
	v_add_f16_e64 v143, v138, v123
	v_add_f16_e32 v40, v113, v40
	v_mul_f16_e32 v113, 0xbbb2, v32
	v_fma_f16 v32, 0x39e9, v148, v41
	v_fma_f16 v41, v148, 0x39e9, -v41
	v_mul_f16_e32 v123, 0x3836, v42
	v_fma_f16 v138, v153, 0xb461, -v115
	v_fma_f16 v134, 0xb461, v88, v113
	v_add_f16_e32 v31, v32, v31
	v_add_f16_e32 v18, v41, v18
	v_fma_f16 v32, v153, 0xbacd, -v123
	v_add_f16_e64 v41, v138, v128
	v_mul_f16_e64 v138, 0x3964, v42
	v_mul_f16_e64 v145, 0xbb29, v42
	v_fma_f16 v141, v148, 0xbacd, -v160
	v_add_f16_e64 v37, v134, v37
	v_add_f16_e32 v32, v32, v39
	v_mul_f16_e64 v163, 0x3bf7, v42
	v_fma_f16 v39, v153, 0x39e9, -v138
	v_fma_f16 v128, v153, 0x3722, -v145
	v_mul_f16_e64 v134, 0xb5c8, v42
	v_add_f16_e64 v122, v141, v122
	v_fma_f16 v149, v153, 0x2de8, -v163
	v_add_f16_e32 v39, v39, v126
	v_add_f16_e64 v126, v128, v130
	v_fma_f16 v128, 0x3b76, v153, v134
	v_mul_f16_e64 v155, 0xb1e1, v42
	v_add_f16_e64 v151, v149, v122
	v_fma_f16 v122, v153, 0x3b76, -v134
	v_add_f16_e32 v36, v120, v36
	v_add_f16_e64 v40, v128, v40
	v_sub_f16_e64 v128, v23, v7
	v_fma_f16 v141, v153, 0xbbdd, -v155
	v_mul_f16_e32 v42, 0xba62, v42
	v_add_f16_e64 v132, v122, v132
	v_mul_f16_e32 v120, 0xba62, v33
	v_add_f16_e64 v158, v46, v51
	v_mul_f16_e64 v122, 0xba62, v128
	v_add_f16_e64 v141, v141, v143
	v_fma_f16 v33, 0xb8d2, v153, v42
	v_fma_f16 v134, 0xb8d2, v91, v120
	v_mul_f16_e64 v130, 0x3bb2, v128
	v_fma_f16 v143, v158, 0xb8d2, -v122
	v_fma_f16 v42, v153, 0xb8d2, -v42
	v_add_f16_e32 v31, v33, v31
	v_add_f16_e64 v33, v134, v37
	v_fma_f16 v37, v158, 0xb461, -v130
	v_add_f16_e64 v41, v143, v41
	v_mul_f16_e64 v143, 0xb5c8, v128
	v_mul_f16_e64 v149, 0xb836, v128
	v_add_f16_e32 v18, v42, v18
	v_mul_f16_e64 v159, 0x3bf7, v128
	v_add_f16_e32 v32, v37, v32
	v_mul_f16_e64 v167, 0xb964, v128
	v_fma_f16 v37, v158, 0x3b76, -v143
	v_fma_f16 v42, v158, 0xbacd, -v149
	v_mul_f16_e64 v156, 0xb1e1, v128
	v_fma_f16 v134, v158, 0x2de8, -v159
	v_fma_f16 v157, v158, 0x39e9, -v167
	v_add_f16_e32 v37, v37, v39
	v_add_f16_e32 v39, v42, v126
	v_fma_f16 v126, 0xbbdd, v158, v156
	v_add_f16_e64 v42, v134, v141
	v_add_f16_e64 v141, v157, v151
	v_add_f16_e32 v36, v38, v36
	v_mul_f16_e64 v38, 0x3b29, v128
	v_add_f16_e32 v40, v126, v40
	v_sub_f16_e64 v157, v24, v6
	v_mul_f16_e32 v126, 0xb836, v34
	v_fma_f16 v134, v158, 0xbbdd, -v156
	v_fma_f16 v34, 0x3722, v158, v38
	v_add_f16_e64 v161, v47, v50
	v_mul_f16_e64 v128, 0xb836, v157
	v_fma_f16 v151, 0xbacd, v93, v126
	v_add_f16_e64 v132, v134, v132
	v_fma_f16 v38, v158, 0x3722, -v38
	v_add_f16_e32 v31, v34, v31
	v_mul_f16_e64 v134, 0x3b29, v157
	v_fma_f16 v34, v161, 0xbacd, -v128
	v_add_f16_e64 v33, v151, v33
	v_mul_f16_e64 v151, 0xbbf7, v157
	v_add_f16_e32 v18, v38, v18
	v_fma_f16 v38, v161, 0x3722, -v134
	v_add_f16_e32 v34, v34, v41
	v_mul_f16_e64 v156, 0x3a62, v157
	v_fma_f16 v41, v161, 0x2de8, -v151
	v_mul_f16_e64 v168, 0xb1e1, v157
	v_add_f16_e32 v38, v38, v32
	v_mul_f16_e64 v164, 0xb5c8, v157
	v_fma_f16 v32, v161, 0xb8d2, -v156
	v_add_f16_e32 v37, v41, v37
	v_mul_f16_e64 v41, 0x3964, v157
	v_fma_f16 v165, v161, 0xbbdd, -v168
	v_add_f16_e64 v172, v131, v36
	v_add_f16_e32 v39, v32, v39
	v_mul_f16_e64 v32, 0xbbb2, v157
	v_fma_f16 v157, 0x39e9, v161, v41
	v_fma_f16 v41, v161, 0x39e9, -v41
	v_mul_f16_e64 v131, 0xb1e1, v35
	v_sub_f16_e64 v173, v19, v20
	v_fma_f16 v162, v161, 0x3b76, -v164
	v_add_f16_e64 v171, v165, v141
	v_fma_f16 v36, 0xb461, v161, v32
	v_add_f16_e64 v41, v41, v132
	v_fma_f16 v32, v161, 0xb461, -v32
	v_fma_f16 v35, 0xbbdd, v97, v131
	v_add_f16_e64 v165, v48, v49
	v_mul_f16_e64 v132, 0xb1e1, v173
	v_mul_f16_e64 v141, 0x35c8, v173
	v_add_f16_e64 v42, v162, v42
	v_add_f16_e64 v40, v157, v40
	v_add_f16_e32 v18, v32, v18
	v_mul_f16_e64 v157, 0xb836, v173
	v_add_f16_e32 v32, v35, v33
	v_fma_f16 v33, v165, 0xbbdd, -v132
	v_fma_f16 v35, v165, 0x3b76, -v141
	v_mul_f16_e64 v162, 0x3964, v173
	v_add_f16_e32 v31, v36, v31
	v_fma_f16 v36, v165, 0xbacd, -v157
	v_mul_f16_e64 v166, 0xba62, v173
	v_add_f16_e32 v33, v33, v34
	v_add_f16_e32 v34, v35, v38
	v_fma_f16 v38, v165, 0x39e9, -v162
	v_add_f16_e32 v35, v36, v37
	v_fma_f16 v37, v165, 0xb8d2, -v166
	v_mul_f16_e64 v169, 0x3b29, v173
	v_mul_f16_e64 v174, 0xbbb2, v173
	v_add_f16_e32 v36, v38, v39
	v_mul_f16_e64 v38, 0x3bf7, v173
	v_add_f16_e32 v37, v37, v42
	v_fma_f16 v39, v165, 0x3722, -v169
	v_fma_f16 v42, 0xb461, v165, v174
	v_fma_f16 v173, v165, 0xb461, -v174
	v_fma_f16 v174, 0x2de8, v165, v38
	v_fma_f16 v175, v165, 0x2de8, -v38
	v_add_f16_e64 v38, v39, v171
	v_add_f16_e32 v42, v42, v40
	v_add_f16_e64 v39, v173, v41
	v_add_f16_e64 v41, v174, v31
	;; [unrolled: 1-line block ×4, first 2 shown]
	v_mul_lo_u16 v31, v30, 17
	global_wb scope:SCOPE_SE
	s_barrier_signal -1
	s_barrier_wait -1
	global_inv scope:SCOPE_SE
	s_and_saveexec_b32 s4, vcc_lo
	s_cbranch_execz .LBB0_7
; %bb.6:
	v_mul_f16_e64 v179, 0xb8d2, v152
	v_mul_f16_e64 v170, 0x3b76, v80
	;; [unrolled: 1-line block ×5, first 2 shown]
	v_add_f16_e64 v144, v144, v179
	v_mul_f16_e64 v179, 0xb461, v139
	v_mul_f16_e64 v178, 0xb461, v80
	v_mul_f16_e32 v80, 0xb8d2, v80
	v_mul_f16_e64 v189, 0x2de8, v153
	v_add_f16_e64 v144, v144, v101
	v_add_f16_e64 v146, v146, v179
	v_mul_f16_e64 v179, 0x3b76, v147
	v_mul_f16_e64 v180, 0x39e9, v76
	;; [unrolled: 1-line block ×4, first 2 shown]
	v_add_f16_e64 v144, v146, v144
	v_add_f16_e64 v146, v154, v179
	v_mul_f16_e64 v154, 0xbacd, v148
	v_mul_f16_e64 v186, 0xbbdd, v76
	;; [unrolled: 1-line block ×3, first 2 shown]
	v_mul_f16_e32 v76, 0xb461, v76
	v_add_f16_e64 v144, v146, v144
	v_add_f16_e64 v146, v160, v154
	v_sub_f16_e32 v73, v80, v73
	v_add_f16_e64 v163, v163, v189
	v_mul_f16_e64 v189, 0x39e9, v158
	v_sub_f16_e32 v76, v76, v109
	v_add_f16_e64 v144, v146, v144
	v_add_f16_e32 v73, v73, v0
	v_mul_f16_e64 v171, 0x3b76, v152
	v_mul_f16_e64 v173, 0x39e9, v152
	;; [unrolled: 1-line block ×3, first 2 shown]
	v_add_f16_e64 v144, v163, v144
	v_mul_f16_e64 v163, 0x3b76, v81
	v_mul_f16_e64 v177, 0x2de8, v152
	v_mul_f16_e64 v152, 0xb461, v152
	v_add_f16_e64 v167, v167, v189
	v_add_f16_e32 v73, v76, v73
	v_sub_f16_e64 v111, v163, v111
	v_mul_f16_e64 v163, 0xbbdd, v161
	v_mul_f16_e64 v181, 0x39e9, v139
	;; [unrolled: 1-line block ×6, first 2 shown]
	v_add_f16_e64 v144, v167, v144
	v_mul_f16_e64 v167, 0xbacd, v83
	v_add_f16_e64 v163, v168, v163
	v_add_f16_e32 v73, v111, v73
	v_mul_f16_e64 v111, 0x3722, v165
	v_add_f16_e64 v136, v136, v152
	v_mul_f16_e64 v160, 0x3722, v147
	v_mul_f16_e64 v146, 0xb8d2, v147
	;; [unrolled: 1-line block ×5, first 2 shown]
	v_sub_f16_e64 v112, v167, v112
	v_add_f16_e64 v144, v163, v144
	v_add_f16_e64 v111, v169, v111
	;; [unrolled: 1-line block ×4, first 2 shown]
	v_mul_f16_e64 v167, 0x2de8, v148
	v_mul_f16_e64 v163, 0x2de8, v88
	v_add_f16_e32 v73, v112, v73
	v_mul_f16_e64 v112, 0xbbdd, v148
	v_add_f16_e64 v111, v111, v144
	v_mul_f16_e64 v144, 0xb461, v148
	v_mul_f16_e64 v139, 0x3b76, v148
	;; [unrolled: 1-line block ×3, first 2 shown]
	v_add_f16_e64 v136, v137, v136
	v_add_f16_e64 v142, v142, v147
	v_sub_f16_e64 v114, v163, v114
	v_sub_f16_e64 v68, v178, v68
	v_add_f16_e64 v148, v150, v148
	v_mul_f16_e64 v154, 0x3722, v81
	v_add_f16_e64 v136, v142, v136
	v_mul_f16_e64 v188, 0xb8d2, v81
	v_mul_f16_e32 v80, 0xbbdd, v81
	v_mul_f16_e64 v189, 0xb461, v81
	v_mul_f16_e32 v81, 0x39e9, v81
	v_add_f16_e32 v73, v114, v73
	v_mul_f16_e32 v114, 0x39e9, v91
	v_add_f16_e64 v136, v148, v136
	v_mul_f16_e64 v148, 0xbbdd, v153
	v_sub_f16_e64 v72, v179, v72
	v_add_f16_e32 v68, v68, v0
	v_mul_f16_e64 v168, 0x2de8, v83
	v_mul_f16_e64 v169, 0xbbdd, v83
	;; [unrolled: 1-line block ×4, first 2 shown]
	v_mul_f16_e32 v83, 0x3722, v83
	v_sub_f16_e32 v110, v114, v110
	v_mul_f16_e64 v142, 0x3722, v97
	v_add_f16_e64 v148, v155, v148
	v_add_f16_e32 v68, v72, v68
	v_sub_f16_e32 v75, v81, v75
	v_mul_f16_e32 v114, 0xb461, v88
	v_add_f16_e32 v73, v110, v73
	v_mul_f16_e32 v110, 0xbacd, v88
	v_mul_f16_e64 v150, 0x39e9, v88
	v_sub_f16_e64 v121, v142, v121
	v_mul_f16_e64 v142, 0x3722, v88
	v_mul_f16_e32 v88, 0xbbdd, v88
	v_add_f16_e64 v136, v148, v136
	v_mul_f16_e64 v148, 0x2de8, v158
	v_add_f16_e32 v68, v75, v68
	v_sub_f16_e32 v83, v83, v84
	v_mul_f16_e64 v178, 0xb8d2, v91
	v_mul_f16_e64 v179, 0xb461, v91
	v_mul_f16_e32 v72, 0x3b76, v91
	v_add_f16_e64 v148, v159, v148
	v_mul_f16_e64 v159, 0xbacd, v91
	v_mul_f16_e32 v91, 0x2de8, v91
	v_mul_f16_e64 v75, 0x3b76, v161
	v_add_f16_e32 v68, v83, v68
	v_sub_f16_e32 v86, v88, v86
	v_add_f16_e64 v125, v125, v177
	v_mul_f16_e64 v137, 0xbbdd, v93
	v_mul_f16_e32 v84, 0xbacd, v93
	v_add_f16_e64 v75, v164, v75
	v_mul_f16_e64 v164, 0x3722, v93
	v_mul_f16_e32 v88, 0x2de8, v93
	;; [unrolled: 3-line block ×3, first 2 shown]
	v_add_f16_e32 v125, v125, v101
	v_add_f16_e32 v68, v86, v68
	v_sub_f16_e32 v91, v91, v92
	v_mul_f16_e32 v86, 0xbbdd, v97
	v_sub_f16_e32 v93, v93, v99
	v_add_f16_e32 v125, v127, v125
	v_mul_f16_e32 v127, 0x3b76, v97
	v_add_f16_e32 v68, v91, v68
	v_mul_f16_e32 v91, 0xbacd, v97
	v_add_f16_e64 v139, v140, v139
	v_mul_f16_e64 v140, 0x39e9, v97
	v_mul_f16_e32 v97, 0xb8d2, v97
	v_add_f16_e32 v68, v93, v68
	v_sub_f16_e64 v62, v176, v62
	v_sub_f16_e64 v63, v186, v63
	;; [unrolled: 1-line block ×3, first 2 shown]
	v_sub_f16_e32 v93, v97, v102
	v_add_f16_e64 v102, v118, v185
	v_add_f16_e32 v62, v62, v0
	v_mul_f16_e64 v81, 0x3b76, v158
	v_add_f16_e32 v73, v119, v73
	v_add_f16_e32 v68, v93, v68
	v_add_f16_e64 v93, v116, v175
	v_add_f16_e32 v62, v63, v62
	v_sub_f16_e64 v63, v189, v67
	v_mul_f16_e64 v119, 0x39e9, v153
	v_sub_f16_e64 v59, v174, v59
	v_add_f16_e32 v93, v93, v101
	v_mul_f16_e64 v177, 0x2de8, v161
	v_add_f16_e32 v62, v63, v62
	v_sub_f16_e64 v63, v152, v71
	v_add_f16_e64 v71, v133, v144
	v_add_f16_e32 v67, v102, v93
	v_add_f16_e64 v93, v129, v109
	v_add_f16_e32 v59, v59, v0
	v_add_f16_e32 v62, v63, v62
	v_sub_f16_e64 v63, v142, v78
	v_sub_f16_e64 v60, v184, v60
	v_add_f16_e32 v67, v93, v67
	v_mul_f16_e64 v99, 0xbacd, v165
	v_sub_f16_e64 v57, v172, v57
	v_add_f16_e32 v62, v63, v62
	v_sub_f16_e64 v63, v159, v87
	v_add_f16_e32 v67, v71, v67
	v_add_f16_e64 v71, v138, v119
	v_add_f16_e32 v59, v60, v59
	v_sub_f16_e32 v60, v80, v64
	v_add_f16_e32 v62, v63, v62
	v_sub_f16_e64 v63, v187, v89
	v_add_f16_e32 v67, v71, v67
	v_add_f16_e64 v71, v143, v81
	v_add_f16_e32 v57, v57, v0
	v_sub_f16_e64 v58, v182, v58
	v_add_f16_e32 v62, v63, v62
	v_sub_f16_e64 v63, v140, v94
	v_add_f16_e32 v64, v71, v67
	v_add_f16_e64 v67, v151, v177
	v_add_f16_e32 v57, v58, v57
	v_sub_f16_e64 v58, v188, v61
	v_add_f16_e32 v62, v63, v62
	v_add_f16_e64 v63, v106, v173
	v_add_f16_e32 v64, v67, v64
	v_add_f16_e64 v67, v157, v99
	v_add_f16_e32 v56, v56, v101
	v_add_f16_e32 v1, v1, v0
	;; [unrolled: 1-line block ×5, first 2 shown]
	v_add_f16_e64 v67, v105, v183
	v_sub_f16_e64 v58, v169, v65
	v_add_f16_e32 v55, v55, v56
	v_add_f16_e32 v1, v25, v1
	v_mul_f16_e64 v137, 0xbacd, v153
	v_add_f16_e32 v63, v67, v63
	v_add_f16_e64 v67, v117, v146
	v_add_f16_e32 v57, v58, v57
	v_sub_f16_e32 v25, v110, v66
	v_add_f16_e32 v54, v54, v55
	v_add_f16_e32 v1, v26, v1
	;; [unrolled: 1-line block ×5, first 2 shown]
	v_mul_f16_e64 v121, 0xb461, v158
	v_add_f16_e32 v25, v25, v57
	v_sub_f16_e64 v26, v179, v70
	v_add_f16_e32 v61, v63, v61
	v_add_f16_e64 v63, v123, v137
	v_add_f16_e32 v53, v53, v54
	v_add_f16_e32 v1, v21, v1
	v_mul_f16_e64 v83, 0x3722, v161
	v_add_f16_e64 v58, v130, v121
	v_add_f16_e32 v56, v63, v61
	v_add_f16_e32 v25, v26, v25
	v_sub_f16_e64 v26, v164, v77
	v_add_f16_e32 v52, v52, v53
	v_add_f16_e32 v1, v22, v1
	v_add_f16_e64 v76, v135, v76
	v_mul_f16_e64 v135, 0x3b76, v165
	v_add_f16_e32 v55, v58, v56
	v_add_f16_e64 v21, v134, v83
	v_add_f16_e32 v25, v26, v25
	v_add_f16_e32 v26, v51, v52
	;; [unrolled: 1-line block ×3, first 2 shown]
	v_add_f16_e64 v22, v141, v135
	v_add_f16_e32 v21, v21, v55
	v_sub_f16_e32 v23, v127, v82
	v_add_f16_e32 v26, v50, v26
	v_add_f16_e32 v1, v24, v1
	v_sub_f16_e64 v24, v170, v95
	v_add_f16_e32 v21, v22, v21
	v_add_f16_e64 v22, v98, v171
	v_add_f16_e32 v23, v23, v25
	v_add_f16_e32 v25, v49, v26
	;; [unrolled: 1-line block ×3, first 2 shown]
	v_add_f16_e64 v19, v100, v181
	v_add_f16_e32 v22, v22, v101
	v_add_f16_e32 v0, v24, v0
	;; [unrolled: 1-line block ×4, first 2 shown]
	v_sub_f16_e64 v24, v180, v96
	v_add_f16_e32 v19, v19, v22
	v_add_f16_e64 v20, v104, v160
	v_add_f16_e32 v22, v47, v25
	v_add_f16_e32 v1, v6, v1
	;; [unrolled: 1-line block ×3, first 2 shown]
	v_sub_f16_e64 v6, v154, v103
	v_add_f16_e32 v19, v20, v19
	v_add_f16_e64 v20, v108, v167
	v_add_f16_e32 v22, v46, v22
	v_add_f16_e32 v1, v7, v1
	v_mul_f16_e64 v147, 0xb461, v153
	v_add_f16_e32 v0, v6, v0
	v_sub_f16_e64 v6, v168, v107
	v_add_f16_e32 v7, v20, v19
	v_add_f16_e32 v19, v45, v22
	;; [unrolled: 1-line block ×3, first 2 shown]
	v_mul_f16_e64 v153, 0x3722, v153
	v_add_f16_e32 v76, v76, v125
	v_add_f16_e32 v59, v60, v59
	v_sub_f16_e64 v60, v163, v69
	v_mul_f16_e64 v155, 0xb8d2, v158
	v_add_f16_e64 v2, v115, v147
	v_add_f16_e32 v0, v6, v0
	v_sub_f16_e32 v6, v114, v113
	v_add_f16_e32 v19, v44, v19
	v_add_f16_e32 v1, v3, v1
	v_mul_f16_e64 v158, 0xbacd, v158
	v_add_f16_e64 v76, v139, v76
	v_add_f16_e64 v97, v145, v153
	v_add_f16_e32 v59, v60, v59
	v_sub_f16_e64 v60, v150, v74
	v_add_f16_e64 v136, v148, v136
	v_mul_f16_e64 v148, 0xbacd, v161
	v_add_f16_e32 v2, v2, v7
	v_add_f16_e64 v3, v122, v155
	v_add_f16_e32 v0, v6, v0
	v_add_f16_e32 v6, v43, v19
	;; [unrolled: 1-line block ×3, first 2 shown]
	v_sub_f16_e64 v4, v178, v120
	v_mul_f16_e64 v161, 0xb8d2, v161
	v_add_f16_e32 v76, v97, v76
	v_add_f16_e64 v97, v149, v158
	v_add_f16_e32 v59, v60, v59
	v_sub_f16_e32 v60, v72, v79
	v_add_f16_e32 v2, v3, v2
	v_add_f16_e64 v3, v128, v148
	v_add_f16_e32 v6, v28, v6
	v_add_f16_e32 v1, v5, v1
	v_mul_f16_e64 v92, 0xbbdd, v165
	v_add_f16_e32 v0, v4, v0
	v_sub_f16_e32 v4, v84, v126
	v_mul_f16_e64 v125, 0xb8d2, v165
	v_mul_f16_e64 v165, 0x39e9, v165
	v_add_f16_e32 v76, v97, v76
	v_add_f16_e64 v97, v156, v161
	v_add_f16_e32 v59, v60, v59
	v_sub_f16_e32 v60, v88, v85
	v_add_f16_e32 v2, v3, v2
	v_add_f16_e32 v3, v27, v6
	;; [unrolled: 1-line block ×3, first 2 shown]
	v_add_f16_e64 v5, v132, v92
	v_add_f16_e32 v0, v4, v0
	v_sub_f16_e64 v4, v86, v131
	v_add_f16_e32 v76, v97, v76
	v_add_f16_e64 v97, v162, v165
	v_add_f16_e32 v59, v60, v59
	v_sub_f16_e32 v60, v91, v90
	v_add_f16_e64 v75, v75, v136
	v_add_f16_e64 v125, v166, v125
	v_lshlrev_b32_e32 v3, 16, v3
	v_and_b32_e32 v1, 0xffff, v1
	v_and_b32_e32 v6, 0xffff, v31
	v_add_f16_e32 v2, v5, v2
	v_add_f16_e32 v0, v4, v0
	;; [unrolled: 1-line block ×5, first 2 shown]
	v_or_b32_e32 v1, v3, v1
	v_lshlrev_b32_e32 v3, 2, v6
	v_pack_b32_f16 v5, v23, v21
	v_pack_b32_f16 v0, v0, v2
	;; [unrolled: 1-line block ×6, first 2 shown]
	ds_store_b32 v3, v1
	ds_store_2addr_b32 v3, v0, v5 offset0:1 offset1:2
	ds_store_2addr_b32 v3, v4, v2 offset0:3 offset1:4
	;; [unrolled: 1-line block ×3, first 2 shown]
	v_perm_b32 v0, v41, v15, 0x5040100
	v_perm_b32 v1, v42, v18, 0x5040100
	v_perm_b32 v2, v39, v13, 0x5040100
	v_perm_b32 v4, v40, v16, 0x5040100
	v_perm_b32 v5, v37, v11, 0x5040100
	v_perm_b32 v6, v38, v14, 0x5040100
	v_perm_b32 v7, v35, v9, 0x5040100
	v_perm_b32 v17, v36, v12, 0x5040100
	v_perm_b32 v19, v33, v32, 0x5040100
	v_perm_b32 v20, v34, v10, 0x5040100
	ds_store_2addr_b32 v3, v1, v0 offset0:7 offset1:8
	ds_store_2addr_b32 v3, v4, v2 offset0:9 offset1:10
	;; [unrolled: 1-line block ×5, first 2 shown]
.LBB0_7:
	s_wait_alu 0xfffe
	s_or_b32 exec_lo, exec_lo, s4
	v_and_b32_e32 v0, 0xff, v30
	s_load_b128 s[4:7], s[2:3], 0x0
	global_wb scope:SCOPE_SE
	s_wait_dscnt 0x0
	s_wait_kmcnt 0x0
	s_barrier_signal -1
	s_barrier_wait -1
	v_mul_lo_u16 v0, 0xf1, v0
	global_inv scope:SCOPE_SE
	v_add_nc_u32_e32 v63, 0x200, v29
	v_add_nc_u32_e32 v62, 0x600, v29
	v_mad_co_u64_u32 v[23:24], null, v30, 24, s[0:1]
	v_lshrrev_b16 v17, 12, v0
	s_delay_alu instid0(VALU_DEP_1) | instskip(SKIP_1) | instid1(VALU_DEP_2)
	v_mul_lo_u16 v0, v17, 17
	v_and_b32_e32 v17, 0xffff, v17
	v_sub_nc_u16 v0, v30, v0
	s_delay_alu instid0(VALU_DEP_2) | instskip(NEXT) | instid1(VALU_DEP_2)
	v_mul_u32_u24_e32 v17, 0x77, v17
	v_and_b32_e32 v25, 0xff, v0
	s_delay_alu instid0(VALU_DEP_1) | instskip(NEXT) | instid1(VALU_DEP_3)
	v_mul_u32_u24_e32 v0, 6, v25
	v_add_lshl_u32 v43, v17, v25, 2
	s_delay_alu instid0(VALU_DEP_2)
	v_lshlrev_b32_e32 v4, 2, v0
	s_clause 0x1
	global_load_b128 v[0:3], v4, s[0:1]
	global_load_b64 v[19:20], v4, s[0:1] offset:16
	ds_load_2addr_b32 v[4:5], v29 offset1:119
	ds_load_b32 v26, v29 offset:2856
	ds_load_2addr_b32 v[6:7], v63 offset0:110 offset1:229
	ds_load_2addr_b32 v[21:22], v62 offset0:92 offset1:211
	global_wb scope:SCOPE_SE
	s_wait_loadcnt_dscnt 0x0
	s_barrier_signal -1
	s_barrier_wait -1
	global_inv scope:SCOPE_SE
	v_lshrrev_b32_e32 v28, 16, v26
	v_lshrrev_b32_e32 v27, 16, v5
	v_lshrrev_b32_e32 v51, 16, v6
	v_lshrrev_b32_e32 v53, 16, v21
	v_lshrrev_b32_e32 v54, 16, v22
	v_lshrrev_b32_e32 v52, 16, v7
	v_lshrrev_b32_e32 v50, 16, v4
	v_lshrrev_b32_e32 v49, 16, v0
	v_lshrrev_b32_e32 v47, 16, v1
	v_lshrrev_b32_e32 v44, 16, v3
	v_lshrrev_b32_e32 v45, 16, v19
	v_lshrrev_b32_e32 v48, 16, v20
	v_lshrrev_b32_e32 v46, 16, v2
	v_mul_f16_e32 v17, v27, v49
	v_mul_f16_e32 v25, v5, v49
	;; [unrolled: 1-line block ×12, first 2 shown]
	v_fma_f16 v5, v5, v0, -v17
	v_fmac_f16_e32 v25, v27, v0
	v_fma_f16 v6, v6, v1, -v55
	v_fmac_f16_e32 v56, v51, v1
	v_fma_f16 v17, v21, v3, -v59
	v_fma_f16 v21, v26, v20, -v65
	v_fmac_f16_e32 v66, v28, v20
	v_fma_f16 v22, v22, v19, -v61
	v_fmac_f16_e32 v64, v54, v19
	;; [unrolled: 2-line block ×3, first 2 shown]
	v_fmac_f16_e32 v60, v53, v3
	v_add_f16_e32 v26, v5, v21
	v_add_f16_e32 v27, v25, v66
	v_sub_f16_e32 v5, v5, v21
	v_sub_f16_e32 v21, v25, v66
	v_add_f16_e32 v25, v6, v22
	v_add_f16_e32 v28, v56, v64
	v_sub_f16_e32 v6, v6, v22
	v_sub_f16_e32 v22, v56, v64
	;; [unrolled: 4-line block ×4, first 2 shown]
	v_sub_f16_e32 v26, v26, v51
	v_sub_f16_e32 v27, v27, v52
	;; [unrolled: 1-line block ×4, first 2 shown]
	v_add_f16_e32 v57, v7, v6
	v_add_f16_e32 v58, v17, v22
	v_sub_f16_e32 v59, v7, v6
	v_sub_f16_e32 v60, v17, v22
	;; [unrolled: 1-line block ×3, first 2 shown]
	v_add_f16_e32 v51, v51, v53
	v_add_f16_e32 v52, v52, v54
	v_sub_f16_e32 v6, v6, v5
	v_sub_f16_e32 v7, v5, v7
	;; [unrolled: 1-line block ×3, first 2 shown]
	v_add_f16_e32 v5, v57, v5
	v_add_f16_e32 v21, v58, v21
	v_mul_f16_e32 v26, 0x3a52, v26
	v_mul_f16_e32 v27, 0x3a52, v27
	;; [unrolled: 1-line block ×7, first 2 shown]
	v_add_f16_e32 v4, v51, v4
	v_add_f16_e32 v50, v52, v50
	v_mul_f16_e32 v59, 0x3b00, v6
	v_fmamk_f16 v25, v25, 0x2b26, v26
	v_fmamk_f16 v28, v28, 0x2b26, v27
	v_fma_f16 v53, v55, 0x39e0, -v53
	v_fma_f16 v54, v56, 0x39e0, -v54
	;; [unrolled: 1-line block ×4, first 2 shown]
	v_fmamk_f16 v55, v7, 0x3574, v57
	v_fmamk_f16 v56, v17, 0x3574, v58
	v_fma_f16 v6, v6, 0x3b00, -v57
	v_fma_f16 v22, v22, 0x3b00, -v58
	;; [unrolled: 1-line block ×3, first 2 shown]
	v_lshlrev_b32_e32 v57, 16, v50
	v_and_b32_e32 v58, 0xffff, v4
	v_fmac_f16_e32 v4, 0xbcab, v51
	v_fmac_f16_e32 v50, 0xbcab, v52
	v_fma_f16 v7, v7, 0xb574, -v59
	v_fmac_f16_e32 v55, 0x370e, v5
	v_fmac_f16_e32 v56, 0x370e, v21
	v_fmac_f16_e32 v22, 0x370e, v21
	v_fmac_f16_e32 v17, 0x370e, v21
	v_add_f16_e32 v21, v25, v4
	v_add_f16_e32 v25, v28, v50
	v_fmac_f16_e32 v6, 0x370e, v5
	v_fmac_f16_e32 v7, 0x370e, v5
	v_add_f16_e32 v28, v53, v4
	v_add_f16_e32 v4, v26, v4
	;; [unrolled: 1-line block ×5, first 2 shown]
	v_sub_f16_e32 v51, v25, v55
	v_or_b32_e32 v5, v57, v58
	v_add_f16_e32 v52, v17, v4
	v_sub_f16_e32 v53, v26, v7
	v_sub_f16_e32 v54, v28, v22
	v_add_f16_e32 v57, v6, v27
	v_add_f16_e32 v22, v22, v28
	v_sub_f16_e32 v6, v27, v6
	v_sub_f16_e32 v4, v4, v17
	v_add_f16_e32 v7, v7, v26
	v_sub_f16_e32 v17, v21, v56
	v_add_f16_e32 v21, v55, v25
	v_pack_b32_f16 v25, v50, v51
	v_pack_b32_f16 v26, v52, v53
	;; [unrolled: 1-line block ×6, first 2 shown]
	ds_store_2addr_b32 v43, v5, v25 offset1:17
	ds_store_2addr_b32 v43, v26, v27 offset0:34 offset1:51
	ds_store_2addr_b32 v43, v6, v4 offset0:68 offset1:85
	ds_store_b32 v43, v7 offset:408
	global_wb scope:SCOPE_SE
	s_wait_dscnt 0x0
	s_barrier_signal -1
	s_barrier_wait -1
	global_inv scope:SCOPE_SE
	s_clause 0x1
	global_load_b128 v[4:7], v[23:24], off offset:408
	global_load_b64 v[21:22], v[23:24], off offset:424
	ds_load_2addr_b32 v[23:24], v29 offset1:119
	ds_load_2addr_b32 v[25:26], v63 offset0:110 offset1:229
	ds_load_2addr_b32 v[27:28], v62 offset0:92 offset1:211
	ds_load_b32 v17, v29 offset:2856
	s_wait_dscnt 0x3
	v_lshrrev_b32_e32 v56, 16, v24
	s_wait_dscnt 0x2
	v_lshrrev_b32_e32 v57, 16, v25
	;; [unrolled: 2-line block ×4, first 2 shown]
	v_lshrrev_b32_e32 v58, 16, v26
	v_lshrrev_b32_e32 v59, 16, v27
	;; [unrolled: 1-line block ×3, first 2 shown]
	s_wait_loadcnt 0x1
	v_lshrrev_b32_e32 v55, 16, v4
	v_lshrrev_b32_e32 v54, 16, v5
	s_wait_loadcnt 0x0
	v_lshrrev_b32_e32 v50, 16, v21
	v_lshrrev_b32_e32 v52, 16, v22
	;; [unrolled: 1-line block ×4, first 2 shown]
	v_mul_f16_e32 v65, v56, v55
	v_mul_f16_e32 v66, v24, v55
	;; [unrolled: 1-line block ×12, first 2 shown]
	v_fma_f16 v24, v24, v4, -v65
	v_fmac_f16_e32 v66, v56, v4
	v_fma_f16 v25, v25, v5, -v67
	v_fmac_f16_e32 v68, v57, v5
	;; [unrolled: 2-line block ×6, first 2 shown]
	v_add_f16_e32 v56, v24, v17
	v_add_f16_e32 v57, v66, v76
	;; [unrolled: 1-line block ×4, first 2 shown]
	v_sub_f16_e32 v17, v24, v17
	v_sub_f16_e32 v24, v66, v76
	;; [unrolled: 1-line block ×4, first 2 shown]
	v_add_f16_e32 v60, v26, v27
	v_add_f16_e32 v61, v70, v72
	v_sub_f16_e32 v26, v27, v26
	v_sub_f16_e32 v27, v72, v70
	v_add_f16_e32 v65, v58, v56
	v_add_f16_e32 v66, v59, v57
	v_sub_f16_e32 v67, v58, v56
	v_sub_f16_e32 v68, v59, v57
	;; [unrolled: 1-line block ×6, first 2 shown]
	v_add_f16_e32 v69, v26, v25
	v_add_f16_e32 v70, v27, v28
	v_sub_f16_e32 v71, v26, v25
	v_sub_f16_e32 v72, v27, v28
	;; [unrolled: 1-line block ×4, first 2 shown]
	v_add_f16_e32 v60, v60, v65
	v_add_f16_e32 v61, v61, v66
	v_sub_f16_e32 v26, v17, v26
	v_sub_f16_e32 v27, v24, v27
	v_add_f16_e32 v17, v69, v17
	v_add_f16_e32 v24, v70, v24
	v_mul_f16_e32 v56, 0x3a52, v56
	v_mul_f16_e32 v57, 0x3a52, v57
	;; [unrolled: 1-line block ×8, first 2 shown]
	v_add_f16_e32 v73, v60, v23
	v_add_f16_e32 v64, v61, v64
	v_fmamk_f16 v58, v58, 0x2b26, v56
	v_fmamk_f16 v59, v59, 0x2b26, v57
	v_fma_f16 v65, v67, 0x39e0, -v65
	v_fma_f16 v66, v68, 0x39e0, -v66
	;; [unrolled: 1-line block ×4, first 2 shown]
	v_fmamk_f16 v67, v26, 0x3574, v69
	v_fmamk_f16 v68, v27, 0x3574, v70
	v_fma_f16 v69, v25, 0x3b00, -v69
	v_fma_f16 v25, v28, 0x3b00, -v70
	;; [unrolled: 1-line block ×4, first 2 shown]
	v_lshlrev_b32_e32 v23, 16, v64
	v_and_b32_e32 v27, 0xffff, v73
	v_fmac_f16_e32 v73, 0xbcab, v60
	v_fmac_f16_e32 v64, 0xbcab, v61
	;; [unrolled: 1-line block ×6, first 2 shown]
	v_add_f16_e32 v17, v58, v73
	v_add_f16_e32 v71, v59, v64
	v_fmac_f16_e32 v25, 0x370e, v24
	v_fmac_f16_e32 v26, 0x370e, v24
	v_add_f16_e32 v58, v65, v73
	v_add_f16_e32 v56, v56, v73
	;; [unrolled: 1-line block ×5, first 2 shown]
	v_sub_f16_e32 v61, v71, v67
	v_or_b32_e32 v23, v23, v27
	v_add_f16_e32 v27, v26, v56
	v_sub_f16_e32 v60, v57, v70
	v_sub_f16_e32 v28, v58, v25
	v_add_f16_e32 v59, v69, v64
	v_add_f16_e32 v25, v25, v58
	v_sub_f16_e32 v58, v64, v69
	v_sub_f16_e32 v26, v56, v26
	v_add_f16_e32 v57, v70, v57
	v_sub_f16_e32 v17, v17, v68
	v_add_f16_e32 v56, v67, v71
	v_pack_b32_f16 v64, v24, v61
	v_pack_b32_f16 v65, v27, v60
	;; [unrolled: 1-line block ×6, first 2 shown]
	ds_store_2addr_b32 v29, v23, v64 offset1:119
	ds_store_2addr_b32 v63, v65, v66 offset0:110 offset1:229
	ds_store_2addr_b32 v62, v67, v68 offset0:92 offset1:211
	ds_store_b32 v29, v69 offset:2856
	global_wb scope:SCOPE_SE
	s_wait_dscnt 0x0
	s_barrier_signal -1
	s_barrier_wait -1
	global_inv scope:SCOPE_SE
	s_and_saveexec_b32 s2, vcc_lo
	s_cbranch_execz .LBB0_9
; %bb.8:
	s_add_nc_u64 s[0:1], s[8:9], 0xd04
	s_clause 0x10
	global_load_b32 v65, v29, s[8:9] offset:3332
	global_load_b32 v66, v29, s[0:1] offset:196
	;; [unrolled: 1-line block ×17, first 2 shown]
	ds_load_2addr_b32 v[63:64], v29 offset1:49
	v_add_nc_u32_e32 v92, 0x400, v29
	v_add_nc_u32_e32 v93, 0x800, v29
	s_wait_dscnt 0x0
	v_lshrrev_b32_e32 v67, 16, v63
	v_lshrrev_b32_e32 v69, 16, v64
	s_wait_loadcnt 0x10
	v_lshrrev_b32_e32 v68, 16, v65
	s_wait_loadcnt 0xf
	;; [unrolled: 2-line block ×5, first 2 shown]
	v_lshrrev_b32_e32 v96, 16, v79
	v_mul_f16_e32 v71, v67, v68
	v_mul_f16_e32 v68, v63, v68
	;; [unrolled: 1-line block ×4, first 2 shown]
	s_wait_loadcnt 0xb
	v_lshrrev_b32_e32 v97, 16, v80
	v_fma_f16 v63, v63, v65, -v71
	v_fmac_f16_e32 v68, v67, v65
	v_fma_f16 v64, v64, v66, -v72
	v_fmac_f16_e32 v70, v69, v66
	s_wait_loadcnt 0xa
	v_lshrrev_b32_e32 v98, 16, v81
	s_wait_loadcnt 0x1
	v_lshrrev_b32_e32 v108, 16, v90
	v_pack_b32_f16 v63, v63, v68
	v_lshrrev_b32_e32 v99, 16, v82
	v_pack_b32_f16 v64, v64, v70
	v_lshrrev_b32_e32 v100, 16, v83
	v_lshrrev_b32_e32 v101, 16, v84
	;; [unrolled: 1-line block ×4, first 2 shown]
	ds_store_2addr_b32 v29, v63, v64 offset1:49
	ds_load_2addr_b32 v[63:64], v29 offset0:98 offset1:147
	ds_load_2addr_b32 v[65:66], v29 offset0:196 offset1:245
	;; [unrolled: 1-line block ×5, first 2 shown]
	ds_load_b32 v107, v29 offset:3136
	ds_load_2addr_b32 v[73:74], v93 offset0:76 offset1:125
	ds_load_2addr_b32 v[75:76], v93 offset0:174 offset1:223
	v_lshrrev_b32_e32 v104, 16, v87
	v_lshrrev_b32_e32 v105, 16, v88
	;; [unrolled: 1-line block ×3, first 2 shown]
	s_wait_loadcnt 0x0
	v_lshrrev_b32_e32 v109, 16, v91
	s_wait_dscnt 0x7
	v_lshrrev_b32_e32 v110, 16, v63
	v_lshrrev_b32_e32 v112, 16, v64
	s_wait_dscnt 0x6
	v_lshrrev_b32_e32 v114, 16, v65
	;; [unrolled: 3-line block ×5, first 2 shown]
	v_lshrrev_b32_e32 v128, 16, v72
	v_mul_f16_e32 v111, v63, v108
	v_mul_f16_e32 v113, v64, v94
	s_wait_dscnt 0x1
	v_lshrrev_b32_e32 v130, 16, v73
	v_lshrrev_b32_e32 v132, 16, v74
	s_wait_dscnt 0x0
	v_lshrrev_b32_e32 v134, 16, v75
	v_lshrrev_b32_e32 v136, 16, v76
	;; [unrolled: 1-line block ×3, first 2 shown]
	v_mul_f16_e32 v108, v110, v108
	v_mul_f16_e32 v94, v112, v94
	;; [unrolled: 1-line block ×15, first 2 shown]
	v_mul_f16_e64 v129, v72, v102
	v_mul_f16_e32 v101, v126, v101
	v_mul_f16_e64 v102, v128, v102
	v_mul_f16_e64 v131, v73, v103
	;; [unrolled: 1-line block ×6, first 2 shown]
	v_fmac_f16_e32 v111, v110, v90
	v_fmac_f16_e32 v113, v112, v77
	v_mul_f16_e64 v103, v130, v103
	v_mul_f16_e64 v104, v132, v104
	;; [unrolled: 1-line block ×5, first 2 shown]
	v_fma_f16 v63, v63, v90, -v108
	v_fma_f16 v64, v64, v77, -v94
	v_fmac_f16_e32 v115, v114, v78
	v_fmac_f16_e32 v117, v116, v79
	v_fma_f16 v65, v65, v78, -v95
	v_fma_f16 v66, v66, v79, -v96
	v_fmac_f16_e32 v119, v118, v80
	v_fmac_f16_e32 v121, v120, v81
	;; [unrolled: 4-line block ×3, first 2 shown]
	v_fma_f16 v69, v69, v82, -v99
	v_fma_f16 v70, v70, v83, -v100
	v_fmac_f16_e32 v127, v126, v84
	v_fmac_f16_e64 v129, v128, v85
	v_fma_f16 v71, v71, v84, -v101
	v_fma_f16 v72, v72, v85, -v102
	v_fmac_f16_e64 v131, v130, v86
	v_fmac_f16_e64 v133, v132, v87
	;; [unrolled: 1-line block ×5, first 2 shown]
	v_fma_f16 v73, v73, v86, -v103
	v_fma_f16 v74, v74, v87, -v104
	v_fma_f16 v75, v75, v88, -v105
	v_fma_f16 v76, v76, v89, -v106
	v_fma_f16 v77, v107, v91, -v109
	v_pack_b32_f16 v63, v63, v111
	v_pack_b32_f16 v64, v64, v113
	;; [unrolled: 1-line block ×15, first 2 shown]
	ds_store_2addr_b32 v29, v63, v64 offset0:98 offset1:147
	ds_store_2addr_b32 v29, v65, v66 offset0:196 offset1:245
	;; [unrolled: 1-line block ×7, first 2 shown]
	ds_store_b32 v29, v77 offset:3136
.LBB0_9:
	s_wait_alu 0xfffe
	s_or_b32 exec_lo, exec_lo, s2
	global_wb scope:SCOPE_SE
	s_wait_dscnt 0x0
	s_barrier_signal -1
	s_barrier_wait -1
	global_inv scope:SCOPE_SE
	s_and_saveexec_b32 s0, vcc_lo
	s_cbranch_execz .LBB0_11
; %bb.10:
	v_add_nc_u32_e32 v9, 0x400, v29
	v_add_nc_u32_e32 v10, 0x600, v29
	v_add_nc_u32_e32 v32, 0x800, v29
	ds_load_2addr_b32 v[23:24], v29 offset1:49
	ds_load_2addr_b32 v[27:28], v29 offset0:98 offset1:147
	ds_load_2addr_b32 v[25:26], v29 offset0:196 offset1:245
	;; [unrolled: 1-line block ×7, first 2 shown]
	ds_load_b32 v32, v29 offset:3136
	s_wait_dscnt 0x4
	v_lshrrev_b32_e32 v41, 16, v15
	v_lshrrev_b32_e32 v61, 16, v24
	;; [unrolled: 1-line block ×9, first 2 shown]
	s_wait_dscnt 0x3
	v_lshrrev_b32_e32 v39, 16, v13
	v_lshrrev_b32_e32 v38, 16, v14
	s_wait_dscnt 0x2
	v_lshrrev_b32_e32 v37, 16, v11
	v_lshrrev_b32_e32 v36, 16, v12
	;; [unrolled: 3-line block ×3, first 2 shown]
	s_wait_dscnt 0x0
	v_lshrrev_b32_e32 v33, 16, v32
.LBB0_11:
	s_wait_alu 0xfffe
	s_or_b32 exec_lo, exec_lo, s0
	global_wb scope:SCOPE_SE
	s_barrier_signal -1
	s_barrier_wait -1
	global_inv scope:SCOPE_SE
	s_and_saveexec_b32 s0, vcc_lo
	s_cbranch_execz .LBB0_13
; %bb.12:
	v_add_f16_e64 v151, v33, v61
	v_sub_f16_e32 v67, v24, v32
	v_add_f16_e64 v148, v34, v60
	v_lshrrev_b32_e32 v62, 16, v23
	v_sub_f16_e32 v63, v27, v10
	v_mul_f16_e64 v96, 0xbbdd, v151
	v_add_f16_e64 v147, v35, v59
	v_mul_f16_e64 v97, 0x3b76, v148
	v_sub_f16_e32 v64, v28, v9
	v_add_f16_e64 v140, v36, v58
	v_fmamk_f16 v66, v67, 0x31e1, v96
	v_mul_f16_e64 v92, 0xbacd, v147
	v_fmamk_f16 v68, v63, 0xb5c8, v97
	v_sub_f16_e32 v65, v25, v12
	v_add_f16_e64 v145, v37, v57
	v_add_f16_e32 v69, v66, v62
	v_mul_f16_e64 v94, 0x39e9, v140
	v_fmamk_f16 v70, v64, 0x3836, v92
	v_sub_f16_e64 v154, v61, v33
	v_sub_f16_e32 v66, v26, v11
	v_add_f16_e32 v69, v68, v69
	v_add_f16_e64 v142, v38, v56
	v_mul_f16_e64 v91, 0xb8d2, v145
	v_fmamk_f16 v71, v65, 0xb964, v94
	v_mul_f16_e64 v102, 0xb1e1, v154
	v_add_f16_e32 v69, v70, v69
	v_add_f16_e32 v70, v32, v24
	v_sub_f16_e64 v157, v60, v34
	v_sub_f16_e32 v68, v17, v14
	v_mul_f16_e64 v89, 0x3722, v142
	v_fmamk_f16 v72, v66, 0x3a62, v91
	v_add_f16_e32 v69, v71, v69
	v_add_f16_e64 v152, v39, v42
	v_fmamk_f16 v74, v70, 0xbbdd, v102
	v_add_f16_e32 v71, v10, v27
	v_mul_f16_e64 v103, 0x35c8, v157
	v_sub_f16_e64 v160, v59, v35
	v_fmamk_f16 v73, v68, 0xbb29, v89
	v_add_f16_e32 v75, v72, v69
	v_mul_f16_e64 v90, 0xb461, v152
	v_sub_f16_e32 v69, v18, v13
	v_add_f16_e32 v74, v74, v23
	v_fmamk_f16 v76, v71, 0x3b76, v103
	v_add_f16_e32 v72, v9, v28
	v_mul_f16_e64 v99, 0xb836, v160
	v_sub_f16_e64 v162, v58, v36
	v_add_f16_e32 v75, v73, v75
	v_fmamk_f16 v77, v69, 0x3bb2, v90
	v_add_f16_e32 v74, v76, v74
	v_fmamk_f16 v76, v72, 0xbacd, v99
	v_add_f16_e32 v73, v12, v25
	v_mul_f16_e64 v100, 0x3964, v162
	v_add_f16_e32 v77, v77, v75
	v_sub_f16_e64 v156, v57, v37
	v_add_f16_e32 v75, v76, v74
	v_mul_f16_e64 v131, 0xbacd, v151
	v_fmamk_f16 v76, v73, 0x39e9, v100
	v_add_f16_e32 v74, v11, v26
	v_mul_f16_e64 v106, 0xba62, v156
	v_sub_f16_e64 v173, v56, v38
	v_mul_f16_e64 v126, 0x3722, v148
	v_add_f16_e32 v78, v76, v75
	v_fma_f16 v76, 0x3836, v67, v131
	v_fmamk_f16 v79, v74, 0xb8d2, v106
	v_add_f16_e32 v75, v14, v17
	v_mul_f16_e64 v107, 0x3b29, v173
	v_fmamk_f16 v81, v63, 0xbb29, v126
	v_add_f16_e32 v80, v76, v62
	v_mul_f16_e64 v127, 0x2de8, v147
	v_add_f16_e64 v163, v40, v41
	v_add_f16_e32 v78, v79, v78
	v_fmamk_f16 v79, v75, 0x3722, v107
	v_add_f16_e32 v80, v81, v80
	v_fmamk_f16 v81, v64, 0x3bf7, v127
	v_mul_f16_e64 v128, 0xb8d2, v140
	v_sub_f16_e64 v166, v42, v39
	v_mul_f16_e64 v93, 0x2de8, v163
	v_sub_f16_e32 v76, v15, v16
	v_add_f16_e32 v83, v79, v78
	v_add_f16_e32 v79, v81, v80
	v_fma_f16 v80, 0xba62, v65, v128
	v_mul_f16_e64 v129, 0x3b76, v145
	v_add_f16_e32 v78, v13, v18
	v_mul_f16_e64 v135, 0xbbb2, v166
	v_sub_f16_e64 v146, v41, v40
	v_fmamk_f16 v82, v76, 0xbbf7, v93
	v_add_f16_e32 v80, v80, v79
	v_fma_f16 v81, 0x35c8, v66, v129
	v_mul_f16_e64 v109, 0xbbdd, v142
	v_fma_f16 v84, 0xb461, v78, v135
	v_add_f16_e32 v79, v16, v15
	v_mul_f16_e64 v118, 0x3bf7, v146
	v_mul_f16_e64 v138, 0xb836, v154
	v_add_f16_e32 v80, v81, v80
	v_fmamk_f16 v81, v68, 0x31e1, v109
	v_mul_f16_e64 v104, 0x39e9, v152
	v_add_f16_e32 v83, v84, v83
	v_fmamk_f16 v84, v79, 0x2de8, v118
	v_add_f16_e32 v77, v82, v77
	v_fma_f16 v82, 0xbacd, v70, v138
	v_mul_f16_e64 v139, 0x3b29, v157
	v_add_f16_e32 v81, v81, v80
	v_fmamk_f16 v85, v69, 0xb964, v104
	v_add_f16_e32 v80, v84, v83
	v_mul_f16_e64 v141, 0xb8d2, v151
	v_add_f16_e32 v82, v82, v23
	v_fma_f16 v83, 0x3722, v71, v139
	v_mul_f16_e64 v144, 0xbbf7, v160
	v_add_f16_e32 v81, v85, v81
	v_fma_f16 v85, 0x3a62, v67, v141
	;; [unrolled: 3-line block ×3, first 2 shown]
	v_mul_f16_e64 v123, 0x3a62, v162
	v_add_f16_e32 v85, v85, v62
	v_fmamk_f16 v86, v63, 0xbbb2, v111
	v_mul_f16_e64 v113, 0x3b76, v147
	v_add_f16_e32 v82, v83, v82
	v_fmamk_f16 v83, v73, 0xb8d2, v123
	;; [unrolled: 3-line block ×5, first 2 shown]
	v_mul_f16_e64 v122, 0x2de8, v145
	v_add_f16_e32 v82, v83, v82
	v_fma_f16 v83, 0xbbdd, v75, v130
	v_mul_f16_e64 v133, 0x3964, v166
	v_add_f16_e32 v85, v86, v85
	v_fmamk_f16 v86, v66, 0xbbf7, v122
	v_mul_f16_e64 v124, 0x39e9, v142
	v_add_f16_e32 v82, v83, v82
	v_fma_f16 v83, 0x39e9, v78, v133
	v_mul_f16_e64 v121, 0xbbb2, v146
	v_mul_f16_e64 v95, 0xb461, v163
	v_add_f16_e32 v85, v86, v85
	v_fmamk_f16 v86, v68, 0x3964, v124
	v_mul_f16_e64 v110, 0xbbdd, v152
	v_add_f16_e32 v82, v83, v82
	v_fmamk_f16 v83, v79, 0xb461, v121
	v_mul_f16_e64 v158, 0xba62, v154
	v_fmamk_f16 v84, v76, 0x3bb2, v95
	v_add_f16_e32 v85, v86, v85
	v_fmamk_f16 v86, v69, 0x31e1, v110
	v_add_f16_e32 v82, v83, v82
	v_fma_f16 v83, 0xb8d2, v70, v158
	v_mul_f16_e64 v159, 0x3bb2, v157
	v_add_f16_e32 v81, v84, v81
	v_add_f16_e32 v84, v86, v85
	v_mul_f16_e64 v150, 0xb461, v151
	v_add_f16_e32 v83, v83, v23
	v_fma_f16 v85, 0xb461, v71, v159
	v_mul_f16_e64 v189, 0xb5c8, v160
	v_mul_f16_e64 v137, 0xbacd, v148
	v_fma_f16 v87, 0x3bb2, v67, v150
	v_mul_f16_e64 v195, 0xb836, v162
	v_add_f16_e32 v83, v85, v83
	v_fma_f16 v85, 0x3b76, v72, v189
	v_fma_f16 v88, 0xb836, v63, v137
	v_add_f16_e32 v87, v87, v62
	v_mul_f16_e64 v114, 0x39e9, v147
	v_mul_f16_e64 v196, 0x3bf7, v156
	v_add_f16_e32 v83, v85, v83
	v_fma_f16 v85, 0xbacd, v73, v195
	v_add_f16_e32 v87, v88, v87
	v_fmamk_f16 v88, v64, 0xb964, v114
	v_mul_f16_e64 v115, 0x3722, v140
	v_mul_f16_e64 v197, 0xb964, v173
	v_add_f16_e32 v83, v85, v83
	v_fma_f16 v85, 0x2de8, v74, v196
	v_add_f16_e32 v87, v88, v87
	v_fmamk_f16 v88, v65, 0x3b29, v115
	v_mul_f16_e64 v116, 0xbbdd, v145
	v_mul_f16_e64 v186, 0xb1e1, v166
	v_add_f16_e32 v83, v85, v83
	v_fma_f16 v85, 0x39e9, v75, v197
	v_mul_f16_e64 v105, 0x3722, v163
	v_add_f16_e32 v87, v88, v87
	v_fmamk_f16 v88, v66, 0x31e1, v116
	v_mul_f16_e64 v117, 0x2de8, v142
	v_add_f16_e32 v83, v85, v83
	v_fma_f16 v85, 0xbbdd, v78, v186
	v_mul_f16_e64 v153, 0x3b29, v146
	v_fmamk_f16 v86, v76, 0xbb29, v105
	v_add_f16_e32 v87, v88, v87
	v_fmamk_f16 v88, v68, 0xbbf7, v117
	v_mul_f16_e64 v112, 0x3b76, v152
	v_add_f16_e32 v85, v85, v83
	v_fma_f16 v98, 0x3722, v79, v153
	v_mul_f16_e64 v170, 0xbbb2, v154
	v_add_f16_e32 v87, v88, v87
	v_fmamk_f16 v88, v69, 0x35c8, v112
	v_add_f16_e32 v83, v86, v84
	v_add_f16_e32 v84, v98, v85
	v_fma_f16 v85, 0xb461, v70, v170
	v_mul_f16_e64 v174, 0x3836, v157
	v_add_f16_e32 v86, v88, v87
	v_mul_f16_e64 v179, 0x2de8, v151
	v_mul_f16_e64 v190, 0x3964, v160
	v_add_f16_e32 v85, v85, v23
	v_fma_f16 v87, 0xbacd, v71, v174
	v_mul_f16_e64 v180, 0xbbdd, v148
	v_fma_f16 v98, 0x3bf7, v67, v179
	v_mul_f16_e64 v191, 0xbb29, v162
	v_mul_f16_e64 v181, 0xb461, v147
	v_add_f16_e32 v85, v87, v85
	v_fma_f16 v87, 0x39e9, v72, v190
	v_add_f16_e32 v98, v98, v62
	v_fma_f16 v101, 0x31e1, v63, v180
	v_mul_f16_e64 v192, 0xb1e1, v156
	v_mul_f16_e64 v182, 0x3b76, v140
	v_add_f16_e32 v85, v87, v85
	v_fma_f16 v87, 0x3722, v73, v191
	v_add_f16_e32 v98, v101, v98
	;; [unrolled: 6-line block ×4, first 2 shown]
	v_fma_f16 v101, 0x3b29, v66, v183
	v_mul_f16_e64 v164, 0xbacd, v142
	v_mul_f16_e64 v171, 0xba62, v146
	v_add_f16_e32 v85, v87, v85
	v_fma_f16 v87, 0x3b76, v78, v194
	v_fmamk_f16 v88, v76, 0x3a62, v108
	v_add_f16_e32 v98, v101, v98
	v_fma_f16 v101, 0x3836, v68, v164
	v_mul_f16_e64 v155, 0xb8d2, v152
	v_add_f16_e32 v87, v87, v85
	v_fma_f16 v120, 0xb8d2, v79, v171
	v_mul_f16_e64 v201, 0xbbf7, v154
	v_add_f16_e32 v98, v101, v98
	v_fma_f16 v101, 0xba62, v69, v155
	v_add_f16_e32 v85, v88, v86
	v_add_f16_e32 v86, v120, v87
	v_fma_f16 v87, 0x2de8, v70, v201
	v_mul_f16_e64 v203, 0xb1e1, v157
	v_mul_f16_e64 v205, 0x3722, v151
	v_add_f16_e32 v88, v101, v98
	v_mul_f16_e64 v206, 0x3bb2, v160
	v_add_f16_e32 v87, v87, v23
	v_fma_f16 v98, 0xbbdd, v71, v203
	v_fma_f16 v132, 0x3b29, v67, v205
	v_mul_f16_e64 v168, 0xb8d2, v148
	v_mul_f16_e64 v176, 0x35c8, v162
	v_mul_f16_e64 v169, 0xbbdd, v147
	v_add_f16_e32 v87, v98, v87
	v_fma_f16 v98, 0xb461, v72, v206
	v_add_f16_e64 v132, v132, v62
	v_fma_f16 v134, 0x3a62, v63, v168
	v_mul_f16_e64 v178, 0xbb29, v156
	v_mul_f16_e64 v172, 0xb461, v140
	v_add_f16_e32 v87, v98, v87
	v_fma_f16 v98, 0x3b76, v73, v176
	v_add_f16_e64 v132, v134, v132
	v_fma_f16 v134, 0xb1e1, v64, v169
	v_mul_f16_e64 v184, 0xb836, v173
	v_mul_f16_e64 v175, 0x39e9, v145
	;; [unrolled: 6-line block ×3, first 2 shown]
	v_add_f16_e32 v87, v98, v87
	v_fma_f16 v98, 0xbacd, v75, v184
	v_add_f16_e64 v132, v134, v132
	v_fma_f16 v134, 0xb964, v66, v175
	v_mul_f16_e64 v177, 0x3b76, v142
	v_fmamk_f16 v101, v76, 0xb964, v120
	v_add_f16_e32 v87, v98, v87
	v_fma_f16 v98, 0xb8d2, v78, v187
	v_mul_f16_e64 v188, 0x3964, v146
	v_add_f16_e64 v132, v134, v132
	v_fma_f16 v134, 0x35c8, v68, v177
	v_mul_f16_e64 v165, 0x2de8, v152
	v_mul_f16_e64 v211, 0xbb29, v154
	v_add_f16_e32 v98, v98, v87
	v_fma_f16 v136, 0x39e9, v79, v188
	v_add_f16_e64 v132, v134, v132
	v_fma_f16 v134, 0x3bf7, v69, v165
	v_add_f16_e32 v87, v101, v88
	v_fma_f16 v101, 0x3722, v70, v211
	v_mul_f16_e64 v213, 0xba62, v157
	v_add_f16_e64 v88, v136, v98
	v_add_f16_e64 v98, v134, v132
	v_mul_f16_e64 v210, 0x39e9, v151
	v_add_f16_e32 v101, v101, v23
	v_fma_f16 v132, 0xb8d2, v71, v213
	v_mul_f16_e64 v216, 0x31e1, v160
	v_mul_f16_e64 v198, 0x2de8, v148
	v_fma_f16 v134, 0x3964, v67, v210
	v_mul_f16_e64 v218, 0x3bb2, v162
	v_add_f16_e64 v101, v132, v101
	v_fma_f16 v132, 0xbbdd, v72, v216
	v_fma_f16 v136, 0x3bf7, v63, v198
	v_add_f16_e64 v134, v134, v62
	v_mul_f16_e64 v200, 0xb8d2, v147
	v_fma_f16 v143, 0xb461, v73, v218
	v_add_f16_e64 v101, v132, v101
	v_mul_f16_e64 v219, 0x3964, v156
	v_add_f16_e64 v134, v136, v134
	v_fma_f16 v136, 0x3a62, v64, v200
	v_mul_f16_e64 v132, 0xbbdd, v140
	v_add_f16_e64 v101, v143, v101
	v_fma_f16 v143, 0x39e9, v74, v219
	;; [unrolled: 3-line block ×4, first 2 shown]
	v_mul_f16_e64 v215, 0xbbf7, v166
	v_mul_f16_e64 v214, 0xb964, v154
	;; [unrolled: 1-line block ×3, first 2 shown]
	v_add_f16_e64 v149, v149, v136
	v_fma_f16 v161, 0xb836, v66, v134
	v_mul_f16_e64 v136, 0xb461, v142
	v_add_f16_e64 v101, v143, v101
	v_fma_f16 v167, 0x2de8, v78, v215
	v_fma_f16 v202, 0x39e9, v70, v214
	v_mul_f16_e64 v217, 0xbbf7, v157
	v_add_f16_e64 v149, v161, v149
	v_fma_f16 v161, 0xbbb2, v68, v136
	v_mul_f16_e64 v143, 0x3722, v152
	v_fma_f16 v199, 0x3836, v76, v185
	v_add_f16_e64 v101, v167, v101
	v_add_f16_e64 v167, v202, v23
	v_fma_f16 v202, 0x2de8, v71, v217
	v_mul_f16_e64 v220, 0xba62, v160
	v_mul_f16_e64 v212, 0xb836, v146
	v_add_f16_e64 v161, v161, v149
	v_fma_f16 v207, 0xbb29, v69, v143
	v_add_f16_e64 v98, v199, v98
	v_add_f16_e64 v199, v202, v167
	v_fma_f16 v202, 0xb8d2, v72, v220
	v_mul_f16_e64 v167, 0xb1e1, v162
	v_mul_f16_e64 v151, 0x3b76, v151
	v_fma_f16 v204, 0xbacd, v79, v212
	v_add_f16_e64 v207, v207, v161
	v_add_f16_e64 v161, v202, v199
	v_fma_f16 v202, 0xbbdd, v73, v167
	v_mul_f16_e64 v199, 0x3836, v156
	v_fma_f16 v209, 0x35c8, v67, v151
	v_mul_f16_e64 v148, 0x39e9, v148
	v_mul_f16_e64 v149, 0x3b76, v163
	v_add_f16_e64 v101, v204, v101
	v_add_f16_e64 v161, v202, v161
	v_fma_f16 v202, 0xbacd, v74, v199
	v_mul_f16_e64 v204, 0x3bb2, v173
	v_add_f16_e64 v209, v209, v62
	v_fma_f16 v222, 0x3964, v63, v148
	v_mul_f16_e64 v147, 0x3722, v147
	v_fma_f16 v208, 0xb5c8, v76, v149
	v_add_f16_e64 v223, v202, v161
	v_fma_f16 v224, 0xb461, v75, v204
	v_mul_f16_e64 v202, 0x3b29, v166
	v_add_f16_e64 v209, v222, v209
	v_fma_f16 v222, 0x3b29, v64, v147
	v_mul_f16_e64 v161, 0x2de8, v140
	v_add_f16_e64 v223, v224, v223
	v_fma_f16 v224, 0x3722, v78, v202
	v_add_f16_e64 v140, v208, v207
	v_add_f16_e64 v209, v222, v209
	v_fma_f16 v222, 0x3bf7, v65, v161
	v_mul_f16_e64 v145, 0xb461, v145
	v_mul_f16_e64 v208, 0xb5c8, v154
	v_add_f16_e64 v223, v224, v223
	v_mul_f16_e64 v207, 0x35c8, v146
	v_add_f16_e64 v222, v222, v209
	v_fma_f16 v224, 0x3bb2, v66, v145
	v_mul_f16_e64 v154, 0xb8d2, v142
	v_fma_f16 v225, 0x3b76, v70, v208
	v_mul_f16_e64 v209, 0xb964, v157
	v_fma_f16 v142, 0x3b76, v79, v207
	v_add_f16_e64 v157, v224, v222
	v_fma_f16 v222, 0x3a62, v68, v154
	v_mul_f16_e64 v152, 0xbacd, v152
	v_add_f16_e64 v224, v225, v23
	v_fma_f16 v225, 0x39e9, v71, v209
	v_mul_f16_e64 v160, 0xbb29, v160
	v_add_f16_e64 v157, v222, v157
	v_fma_f16 v222, 0x3836, v69, v152
	v_add_f16_e64 v142, v142, v223
	v_add_f16_e64 v223, v225, v224
	v_fma_f16 v224, 0x3722, v72, v160
	v_mul_f16_e64 v162, 0xbbf7, v162
	v_fmac_f16_e32 v96, 0xb1e1, v67
	v_add_f16_e64 v222, v222, v157
	v_mul_f16_e64 v157, 0xbbdd, v163
	v_add_f16_e64 v163, v224, v223
	v_fma_f16 v223, 0x2de8, v73, v162
	v_add_f16_e64 v225, v96, v62
	v_fmac_f16_e32 v97, 0x35c8, v63
	v_fmac_f16_e32 v92, 0xb836, v64
	v_fma_f16 v102, v70, 0xbbdd, -v102
	v_add_f16_e64 v223, v223, v163
	v_mul_f16_e64 v163, 0xba62, v173
	v_add_f16_e64 v173, v97, v225
	v_fmac_f16_e32 v94, 0x3964, v65
	v_add_f16_e32 v102, v102, v23
	v_fma_f16 v103, v71, 0x3b76, -v103
	v_fmac_f16_e64 v131, 0xb836, v67
	v_add_f16_e64 v92, v92, v173
	v_mul_f16_e64 v156, 0xbbb2, v156
	v_fmac_f16_e32 v91, 0xba62, v66
	v_fma_f16 v99, v72, 0xbacd, -v99
	v_fmac_f16_e32 v126, 0x3b29, v63
	v_add_f16_e32 v92, v94, v92
	v_add_f16_e32 v94, v103, v102
	v_add_f16_e64 v103, v131, v62
	v_fma_f16 v224, 0x31e1, v76, v157
	v_fma_f16 v226, 0xb461, v74, v156
	v_add_f16_e32 v91, v91, v92
	v_add_f16_e32 v92, v99, v94
	v_fma_f16 v94, v73, 0x39e9, -v100
	v_add_f16_e32 v100, v126, v103
	v_fmac_f16_e32 v127, 0xbbf7, v64
	v_add_f16_e64 v96, v224, v222
	v_add_f16_e64 v222, v226, v223
	v_fma_f16 v223, 0xb8d2, v75, v163
	v_mul_f16_e64 v97, 0xb836, v166
	v_fmac_f16_e32 v89, 0x3b29, v68
	v_add_f16_e32 v92, v94, v92
	v_fma_f16 v103, v74, 0xb8d2, -v106
	v_add_f16_e32 v100, v127, v100
	v_fmac_f16_e64 v128, 0x3a62, v65
	v_add_f16_e64 v166, v223, v222
	v_fma_f16 v173, 0xbacd, v78, v97
	v_mul_f16_e64 v99, 0xb1e1, v146
	v_add_f16_e32 v89, v89, v91
	v_fmac_f16_e32 v90, 0xbbb2, v69
	v_add_f16_e32 v91, v103, v92
	v_fma_f16 v92, v75, 0x3722, -v107
	v_add_f16_e64 v100, v128, v100
	v_fmac_f16_e64 v129, 0xb5c8, v66
	v_add_f16_e64 v102, v173, v166
	v_fmamk_f16 v94, v79, 0xbbdd, v99
	v_add_f16_e32 v89, v90, v89
	v_add_f16_e32 v90, v92, v91
	v_fma_f16 v91, v78, 0xb461, -v135
	v_add_f16_e64 v92, v129, v100
	v_fmac_f16_e32 v109, 0xb1e1, v68
	v_fma_f16 v100, v70, 0xbacd, -v138
	v_add_f16_e32 v94, v94, v102
	v_fmac_f16_e32 v93, 0x3bf7, v76
	v_add_f16_e32 v90, v91, v90
	v_fma_f16 v91, v79, 0x2de8, -v118
	v_add_f16_e32 v92, v109, v92
	v_fmac_f16_e32 v104, 0x3964, v69
	v_add_f16_e32 v100, v100, v23
	v_fma_f16 v102, v71, 0x3722, -v139
	v_fmac_f16_e64 v141, 0xba62, v67
	v_add_f16_e32 v89, v93, v89
	v_add_f16_e32 v90, v91, v90
	;; [unrolled: 1-line block ×4, first 2 shown]
	v_fma_f16 v93, v72, 0x2de8, -v144
	v_add_f16_e64 v100, v141, v62
	v_fmac_f16_e32 v111, 0x3bb2, v63
	v_fma_f16 v102, v70, 0xb8d2, -v158
	v_fmac_f16_e32 v113, 0xb5c8, v64
	v_add_f16_e32 v92, v93, v92
	v_fma_f16 v93, v73, 0xb8d2, -v123
	v_add_f16_e32 v100, v111, v100
	v_add_f16_e32 v102, v102, v23
	v_fma_f16 v103, v71, 0xb461, -v159
	v_fmac_f16_e32 v119, 0xb836, v65
	v_add_f16_e32 v92, v93, v92
	v_fma_f16 v93, v74, 0x3b76, -v125
	v_add_f16_e32 v100, v113, v100
	v_add_f16_e32 v102, v103, v102
	;; [unrolled: 6-line block ×3, first 2 shown]
	v_fma_f16 v103, v73, 0xbacd, -v195
	v_fmac_f16_e32 v95, 0xbbb2, v76
	v_add_f16_e32 v92, v93, v92
	v_fma_f16 v93, v78, 0x39e9, -v133
	v_add_f16_e32 v100, v122, v100
	v_fmac_f16_e32 v124, 0xb964, v68
	v_add_f16_e32 v102, v103, v102
	v_fma_f16 v103, v74, 0x2de8, -v196
	v_add_f16_e32 v91, v95, v91
	v_add_f16_e32 v92, v93, v92
	;; [unrolled: 1-line block ×3, first 2 shown]
	v_fma_f16 v100, v75, 0x39e9, -v197
	v_add_f16_e32 v95, v103, v102
	v_fma_f16 v102, v79, 0xb461, -v121
	v_fmac_f16_e64 v150, 0xbbb2, v67
	v_fmac_f16_e32 v110, 0xb1e1, v69
	v_fmac_f16_e64 v137, 0x3836, v63
	v_add_f16_e32 v95, v100, v95
	v_fma_f16 v100, v78, 0xbbdd, -v186
	v_add_f16_e64 v103, v150, v62
	v_add_f16_e32 v92, v102, v92
	v_fma_f16 v102, v70, 0xb461, -v170
	v_add_f16_e32 v93, v110, v93
	v_fmac_f16_e32 v105, 0x3b29, v76
	v_add_f16_e32 v95, v100, v95
	v_add_f16_e64 v100, v137, v103
	v_add_f16_e32 v102, v102, v23
	v_fma_f16 v103, v71, 0xbacd, -v174
	v_fmac_f16_e64 v179, 0xbbf7, v67
	v_add_f16_e32 v93, v105, v93
	v_fmac_f16_e64 v180, 0xb1e1, v63
	v_fmac_f16_e32 v114, 0x3964, v64
	v_add_f16_e32 v102, v103, v102
	v_fma_f16 v103, v72, 0x39e9, -v190
	v_add_f16_e64 v105, v179, v62
	v_fmac_f16_e64 v181, 0x3bb2, v64
	v_add_f16_e32 v100, v114, v100
	v_fmac_f16_e32 v115, 0xbb29, v65
	v_add_f16_e32 v102, v103, v102
	v_fma_f16 v103, v73, 0x3722, -v191
	v_add_f16_e64 v105, v180, v105
	v_fmac_f16_e64 v182, 0x35c8, v65
	v_fma_f16 v104, v79, 0x3722, -v153
	v_add_f16_e32 v100, v115, v100
	v_add_f16_e32 v102, v103, v102
	v_fma_f16 v103, v74, 0xbbdd, -v192
	v_add_f16_e64 v105, v181, v105
	v_fmac_f16_e32 v116, 0xb1e1, v66
	v_fmac_f16_e64 v183, 0xbb29, v66
	v_fmac_f16_e32 v117, 0x3bf7, v68
	v_add_f16_e32 v102, v103, v102
	v_fma_f16 v103, v75, 0x2de8, -v193
	v_add_f16_e64 v105, v182, v105
	v_add_f16_e32 v100, v116, v100
	v_add_f16_e32 v95, v104, v95
	v_fmac_f16_e64 v164, 0xb836, v68
	v_add_f16_e32 v102, v103, v102
	v_fma_f16 v103, v78, 0x3b76, -v194
	v_add_f16_e64 v104, v183, v105
	v_fma_f16 v105, v70, 0x2de8, -v201
	v_add_f16_e32 v100, v117, v100
	v_fmac_f16_e32 v112, 0xb5c8, v69
	v_add_f16_e32 v102, v103, v102
	v_fma_f16 v103, v79, 0xb8d2, -v171
	v_add_f16_e64 v104, v164, v104
	v_fmac_f16_e64 v155, 0x3a62, v69
	v_add_f16_e32 v105, v105, v23
	v_fma_f16 v106, v71, 0xbbdd, -v203
	v_fmac_f16_e64 v205, 0xbb29, v67
	v_add_f16_e32 v100, v112, v100
	v_fmac_f16_e32 v108, 0xba62, v76
	v_add_f16_e32 v102, v103, v102
	v_add_f16_e64 v103, v155, v104
	v_add_f16_e32 v104, v106, v105
	v_fma_f16 v105, v72, 0xb461, -v206
	v_add_f16_e64 v106, v205, v62
	v_fmac_f16_e64 v168, 0xba62, v63
	v_fma_f16 v107, v70, 0x3722, -v211
	v_add_f16_e32 v100, v108, v100
	v_add_f16_e32 v104, v105, v104
	v_fma_f16 v105, v73, 0x3b76, -v176
	v_add_f16_e64 v106, v168, v106
	v_fmac_f16_e64 v169, 0x31e1, v64
	v_add_f16_e32 v107, v107, v23
	v_fma_f16 v108, v71, 0xb8d2, -v213
	v_add_f16_e32 v104, v105, v104
	v_fma_f16 v105, v74, 0x3722, -v178
	v_add_f16_e64 v106, v169, v106
	v_fmac_f16_e64 v172, 0x3bb2, v65
	v_add_f16_e32 v107, v108, v107
	v_fma_f16 v108, v72, 0xbbdd, -v216
	;; [unrolled: 6-line block ×5, first 2 shown]
	v_fmac_f16_e64 v210, 0xb964, v67
	v_add_f16_e32 v104, v105, v104
	v_add_f16_e64 v105, v165, v106
	v_fmac_f16_e64 v198, 0xbbf7, v63
	v_add_f16_e32 v106, v108, v107
	v_fma_f16 v107, v78, 0x2de8, -v215
	v_add_f16_e64 v108, v210, v62
	v_fma_f16 v109, v70, 0x39e9, -v214
	v_fmac_f16_e64 v200, 0xba62, v64
	v_fma_f16 v110, v71, 0x2de8, -v217
	v_add_f16_e32 v106, v107, v106
	v_fma_f16 v107, v79, 0xbacd, -v212
	v_add_f16_e64 v108, v198, v108
	v_add_f16_e32 v109, v109, v23
	v_add_f16_e32 v61, v61, v62
	;; [unrolled: 1-line block ×4, first 2 shown]
	v_add_f16_e64 v107, v200, v108
	v_add_f16_e32 v108, v110, v109
	v_fma_f16 v109, v72, 0xb8d2, -v220
	v_add_f16_e32 v60, v60, v61
	v_add_f16_e32 v24, v27, v24
	v_fma_f16 v27, v73, 0xbbdd, -v167
	v_fmac_f16_e64 v151, 0xb5c8, v67
	v_add_f16_e32 v108, v109, v108
	v_add_f16_e32 v59, v59, v60
	;; [unrolled: 1-line block ×3, first 2 shown]
	v_fma_f16 v28, v74, 0xbacd, -v199
	v_fmac_f16_e64 v148, 0xb964, v63
	v_add_f16_e32 v27, v27, v108
	v_add_f16_e32 v58, v58, v59
	;; [unrolled: 1-line block ×3, first 2 shown]
	v_fmac_f16_e64 v147, 0xbb29, v64
	v_fmac_f16_e64 v132, 0xb1e1, v65
	v_add_f16_e32 v25, v28, v27
	v_fma_f16 v27, v75, 0xb461, -v204
	v_add_f16_e32 v28, v57, v58
	v_add_f16_e32 v24, v26, v24
	v_fmac_f16_e64 v161, 0xbbf7, v65
	v_add_f16_e64 v107, v132, v107
	v_add_f16_e32 v25, v27, v25
	v_add_f16_e32 v27, v56, v28
	v_add_f16_e32 v17, v17, v24
	v_fma_f16 v24, v78, 0x3722, -v202
	v_fmac_f16_e64 v134, 0x3836, v66
	v_fmac_f16_e64 v145, 0xbbb2, v66
	v_add_f16_e32 v27, v42, v27
	v_add_f16_e32 v17, v18, v17
	v_add_f16_e32 v18, v24, v25
	v_fma_f16 v24, v79, 0x3b76, -v207
	v_add_f16_e64 v25, v151, v62
	v_add_f16_e32 v27, v41, v27
	v_add_f16_e32 v15, v15, v17
	v_add_f16_e64 v61, v134, v107
	v_add_f16_e32 v17, v24, v18
	v_fma_f16 v18, v70, 0x3b76, -v208
	v_add_f16_e32 v24, v40, v27
	v_add_f16_e32 v15, v16, v15
	v_add_f16_e64 v16, v148, v25
	v_fmac_f16_e64 v136, 0x3bb2, v68
	v_add_f16_e32 v18, v18, v23
	v_add_f16_e32 v23, v39, v24
	v_add_f16_e32 v13, v13, v15
	v_fma_f16 v15, v71, 0x39e9, -v209
	v_add_f16_e64 v16, v147, v16
	v_fmac_f16_e64 v154, 0xba62, v68
	v_add_f16_e32 v23, v38, v23
	v_add_f16_e32 v13, v14, v13
	;; [unrolled: 1-line block ×3, first 2 shown]
	v_fma_f16 v15, v72, 0x3722, -v160
	v_add_f16_e64 v16, v161, v16
	v_add_f16_e32 v18, v37, v23
	v_add_f16_e32 v11, v11, v13
	v_add_f16_e64 v60, v136, v61
	v_add_f16_e32 v13, v15, v14
	v_fma_f16 v14, v73, 0x2de8, -v162
	v_add_f16_e32 v15, v36, v18
	v_add_f16_e32 v11, v12, v11
	v_add_f16_e64 v12, v145, v16
	v_fmac_f16_e64 v143, 0x3b29, v69
	v_add_f16_e32 v13, v14, v13
	v_add_f16_e32 v14, v35, v15
	;; [unrolled: 1-line block ×3, first 2 shown]
	v_fma_f16 v11, v74, 0xb461, -v156
	v_add_f16_e64 v12, v154, v12
	v_fmac_f16_e64 v152, 0xb836, v69
	v_add_f16_e32 v14, v34, v14
	v_add_f16_e32 v9, v10, v9
	;; [unrolled: 1-line block ×3, first 2 shown]
	v_fma_f16 v11, v75, 0xb8d2, -v163
	v_fmac_f16_e32 v120, 0x3964, v76
	v_add_f16_e32 v13, v33, v14
	v_add_f16_e32 v9, v32, v9
	v_and_b32_e32 v14, 0xffff, v31
	v_add_f16_e32 v10, v11, v10
	v_fma_f16 v11, v78, 0xbacd, -v97
	v_lshlrev_b32_e32 v13, 16, v13
	v_and_b32_e32 v9, 0xffff, v9
	v_fmac_f16_e64 v185, 0xb836, v76
	v_add_f16_e64 v26, v143, v60
	v_fmac_f16_e64 v149, 0x35c8, v76
	v_add_f16_e64 v12, v152, v12
	v_fmac_f16_e64 v157, 0xb1e1, v76
	v_add_f16_e32 v10, v11, v10
	v_fma_f16 v11, v79, 0xbbdd, -v99
	v_or_b32_e32 v9, v13, v9
	v_lshlrev_b32_e32 v13, 2, v14
	v_pack_b32_f16 v14, v142, v140
	v_pack_b32_f16 v15, v94, v96
	;; [unrolled: 1-line block ×4, first 2 shown]
	v_add_f16_e32 v103, v120, v103
	v_add_f16_e64 v105, v185, v105
	v_pack_b32_f16 v23, v84, v83
	v_pack_b32_f16 v24, v86, v85
	v_add_f16_e64 v26, v149, v26
	v_add_f16_e64 v12, v157, v12
	v_add_f16_e32 v10, v11, v10
	ds_store_b32 v13, v9
	ds_store_2addr_b32 v13, v15, v14 offset0:1 offset1:2
	ds_store_2addr_b32 v13, v18, v16 offset0:3 offset1:4
	ds_store_2addr_b32 v13, v24, v23 offset0:5 offset1:6
	v_pack_b32_f16 v9, v80, v77
	v_pack_b32_f16 v11, v82, v81
	v_pack_b32_f16 v14, v92, v91
	v_pack_b32_f16 v15, v90, v89
	v_pack_b32_f16 v16, v102, v100
	v_pack_b32_f16 v18, v95, v93
	v_pack_b32_f16 v23, v106, v105
	v_pack_b32_f16 v24, v104, v103
	v_pack_b32_f16 v10, v10, v12
	v_pack_b32_f16 v12, v17, v26
	ds_store_2addr_b32 v13, v11, v9 offset0:7 offset1:8
	ds_store_2addr_b32 v13, v15, v14 offset0:9 offset1:10
	;; [unrolled: 1-line block ×5, first 2 shown]
.LBB0_13:
	s_wait_alu 0xfffe
	s_or_b32 exec_lo, exec_lo, s0
	global_wb scope:SCOPE_SE
	s_wait_dscnt 0x0
	s_barrier_signal -1
	s_barrier_wait -1
	global_inv scope:SCOPE_SE
	ds_load_2addr_b32 v[10:11], v29 offset1:119
	v_add_nc_u32_e32 v9, 0x200, v29
	v_add_nc_u32_e32 v16, 0x600, v29
	ds_load_b32 v17, v29 offset:2856
	ds_load_2addr_b32 v[12:13], v9 offset0:110 offset1:229
	ds_load_2addr_b32 v[14:15], v16 offset0:92 offset1:211
	global_wb scope:SCOPE_SE
	s_wait_dscnt 0x0
	s_barrier_signal -1
	s_barrier_wait -1
	global_inv scope:SCOPE_SE
	v_lshrrev_b32_e32 v18, 16, v11
	v_mul_f16_e32 v24, v49, v11
	v_lshrrev_b32_e32 v23, 16, v17
	v_lshrrev_b32_e32 v26, 16, v12
	;; [unrolled: 1-line block ×5, first 2 shown]
	v_mul_f16_e32 v32, v49, v18
	v_fma_f16 v18, v0, v18, -v24
	v_mul_f16_e32 v24, v47, v12
	v_mul_f16_e32 v33, v46, v13
	;; [unrolled: 1-line block ×6, first 2 shown]
	v_fmac_f16_e32 v32, v0, v11
	v_mul_f16_e32 v0, v47, v26
	v_fma_f16 v11, v1, v26, -v24
	v_mul_f16_e32 v24, v46, v27
	v_fma_f16 v26, v2, v27, -v33
	v_mul_f16_e32 v27, v44, v28
	v_mul_f16_e32 v33, v45, v31
	v_fmac_f16_e32 v36, v20, v17
	v_fmac_f16_e32 v0, v1, v12
	;; [unrolled: 1-line block ×4, first 2 shown]
	v_fma_f16 v1, v20, v23, -v25
	v_fma_f16 v2, v3, v28, -v34
	v_fmac_f16_e32 v33, v19, v15
	v_fma_f16 v3, v19, v31, -v35
	v_add_f16_e32 v12, v32, v36
	v_add_f16_e32 v13, v18, v1
	v_sub_f16_e32 v1, v18, v1
	v_add_f16_e32 v15, v0, v33
	v_add_f16_e32 v17, v11, v3
	v_sub_f16_e32 v3, v11, v3
	v_add_f16_e32 v11, v24, v27
	v_add_f16_e32 v18, v26, v2
	;; [unrolled: 1-line block ×4, first 2 shown]
	v_sub_f16_e32 v19, v27, v24
	v_sub_f16_e32 v24, v15, v12
	;; [unrolled: 1-line block ×7, first 2 shown]
	v_add_f16_e32 v18, v18, v23
	v_lshrrev_b32_e32 v23, 16, v10
	v_add_f16_e32 v11, v11, v20
	v_sub_f16_e32 v0, v0, v33
	v_sub_f16_e32 v2, v2, v26
	;; [unrolled: 1-line block ×3, first 2 shown]
	v_add_f16_e32 v23, v18, v23
	v_add_f16_e32 v10, v11, v10
	;; [unrolled: 1-line block ×4, first 2 shown]
	v_sub_f16_e32 v27, v19, v0
	v_sub_f16_e32 v28, v2, v3
	v_lshlrev_b32_e32 v31, 16, v23
	v_and_b32_e32 v32, 0xffff, v10
	v_sub_f16_e32 v0, v0, v14
	v_sub_f16_e32 v3, v3, v1
	;; [unrolled: 1-line block ×4, first 2 shown]
	v_add_f16_e32 v14, v20, v14
	v_add_f16_e32 v1, v26, v1
	v_or_b32_e32 v20, v31, v32
	v_mul_f16_e32 v12, 0x3a52, v12
	v_mul_f16_e32 v13, 0x3a52, v13
	;; [unrolled: 1-line block ×8, first 2 shown]
	v_fmac_f16_e32 v10, 0xbcab, v11
	v_fmac_f16_e32 v23, 0xbcab, v18
	v_fmamk_f16 v11, v15, 0x2b26, v12
	v_fmamk_f16 v15, v17, 0x2b26, v13
	v_fma_f16 v17, v24, 0x39e0, -v26
	v_fma_f16 v18, v25, 0x39e0, -v31
	;; [unrolled: 1-line block ×4, first 2 shown]
	v_fmamk_f16 v24, v19, 0xb574, v27
	v_fmamk_f16 v25, v2, 0xb574, v28
	v_fma_f16 v0, v0, 0xbb00, -v27
	v_fma_f16 v3, v3, 0xbb00, -v28
	;; [unrolled: 1-line block ×4, first 2 shown]
	v_add_f16_e32 v11, v11, v10
	v_add_f16_e32 v15, v15, v23
	v_fmac_f16_e32 v24, 0xb70e, v14
	v_fmac_f16_e32 v25, 0xb70e, v1
	v_add_f16_e32 v17, v17, v10
	v_add_f16_e32 v18, v18, v23
	;; [unrolled: 1-line block ×4, first 2 shown]
	v_fmac_f16_e32 v0, 0xb70e, v14
	v_fmac_f16_e32 v2, 0xb70e, v1
	;; [unrolled: 1-line block ×4, first 2 shown]
	v_add_f16_e32 v1, v25, v11
	v_sub_f16_e32 v13, v15, v24
	v_add_f16_e32 v14, v2, v10
	v_sub_f16_e32 v23, v12, v19
	v_sub_f16_e32 v26, v17, v3
	v_add_f16_e32 v27, v0, v18
	v_add_f16_e32 v3, v3, v17
	v_sub_f16_e32 v0, v18, v0
	v_sub_f16_e32 v2, v10, v2
	v_add_f16_e32 v10, v19, v12
	v_sub_f16_e32 v11, v11, v25
	v_add_f16_e32 v12, v24, v15
	v_pack_b32_f16 v1, v1, v13
	v_pack_b32_f16 v13, v14, v23
	v_pack_b32_f16 v14, v26, v27
	v_pack_b32_f16 v0, v3, v0
	v_pack_b32_f16 v2, v2, v10
	v_pack_b32_f16 v3, v11, v12
	ds_store_2addr_b32 v43, v20, v1 offset1:17
	ds_store_2addr_b32 v43, v13, v14 offset0:34 offset1:51
	ds_store_2addr_b32 v43, v0, v2 offset0:68 offset1:85
	ds_store_b32 v43, v3 offset:408
	global_wb scope:SCOPE_SE
	s_wait_dscnt 0x0
	s_barrier_signal -1
	s_barrier_wait -1
	global_inv scope:SCOPE_SE
	ds_load_2addr_b32 v[0:1], v29 offset1:119
	ds_load_2addr_b32 v[2:3], v9 offset0:110 offset1:229
	ds_load_2addr_b32 v[10:11], v16 offset0:92 offset1:211
	ds_load_b32 v12, v29 offset:2856
	s_wait_dscnt 0x3
	v_lshrrev_b32_e32 v13, 16, v1
	s_wait_dscnt 0x2
	v_lshrrev_b32_e32 v14, 16, v2
	v_lshrrev_b32_e32 v15, 16, v3
	v_mul_f16_e32 v18, v55, v1
	s_wait_dscnt 0x1
	v_lshrrev_b32_e32 v19, 16, v10
	v_mul_f16_e32 v17, v55, v13
	v_lshrrev_b32_e32 v20, 16, v11
	s_wait_dscnt 0x0
	v_lshrrev_b32_e32 v23, 16, v12
	v_mul_f16_e32 v24, v53, v3
	v_mul_f16_e32 v25, v51, v19
	v_fmac_f16_e32 v17, v4, v1
	v_fma_f16 v1, v4, v13, -v18
	v_mul_f16_e32 v4, v54, v14
	v_mul_f16_e32 v13, v54, v2
	v_mul_f16_e32 v18, v53, v15
	v_fmac_f16_e32 v25, v7, v10
	v_mul_f16_e32 v10, v51, v10
	v_fmac_f16_e32 v4, v5, v2
	v_fma_f16 v2, v5, v14, -v13
	v_fmac_f16_e32 v18, v6, v3
	v_fma_f16 v3, v6, v15, -v24
	v_mul_f16_e32 v5, v52, v23
	v_mul_f16_e32 v6, v52, v12
	;; [unrolled: 1-line block ×4, first 2 shown]
	v_fma_f16 v7, v7, v19, -v10
	v_fmac_f16_e32 v5, v22, v12
	v_fma_f16 v6, v22, v23, -v6
	v_fmac_f16_e32 v13, v21, v11
	v_fma_f16 v10, v21, v20, -v14
	v_sub_f16_e32 v15, v25, v18
	v_add_f16_e32 v11, v17, v5
	v_add_f16_e32 v12, v1, v6
	v_sub_f16_e32 v1, v1, v6
	v_add_f16_e32 v6, v4, v13
	v_add_f16_e32 v14, v2, v10
	v_sub_f16_e32 v5, v17, v5
	v_sub_f16_e32 v4, v4, v13
	;; [unrolled: 1-line block ×3, first 2 shown]
	v_add_f16_e32 v10, v18, v25
	v_add_f16_e32 v13, v3, v7
	v_sub_f16_e32 v3, v7, v3
	v_add_f16_e32 v7, v6, v11
	v_add_f16_e32 v17, v14, v12
	v_sub_f16_e32 v19, v14, v12
	v_sub_f16_e32 v12, v12, v13
	;; [unrolled: 1-line block ×3, first 2 shown]
	v_add_f16_e32 v7, v10, v7
	v_add_f16_e32 v13, v13, v17
	v_lshrrev_b32_e32 v17, 16, v0
	v_sub_f16_e32 v18, v6, v11
	v_sub_f16_e32 v11, v11, v10
	v_add_f16_e32 v0, v7, v0
	v_sub_f16_e32 v6, v10, v6
	v_add_f16_e32 v17, v13, v17
	v_add_f16_e32 v10, v15, v4
	;; [unrolled: 1-line block ×3, first 2 shown]
	v_sub_f16_e32 v21, v15, v4
	v_sub_f16_e32 v22, v3, v2
	v_lshlrev_b32_e32 v23, 16, v17
	v_and_b32_e32 v24, 0xffff, v0
	v_sub_f16_e32 v4, v4, v5
	v_sub_f16_e32 v2, v2, v1
	;; [unrolled: 1-line block ×4, first 2 shown]
	v_add_f16_e32 v5, v10, v5
	v_add_f16_e32 v1, v20, v1
	v_or_b32_e32 v10, v23, v24
	v_mul_f16_e32 v11, 0x3a52, v11
	v_mul_f16_e32 v12, 0x3a52, v12
	;; [unrolled: 1-line block ×8, first 2 shown]
	v_fmac_f16_e32 v0, 0xbcab, v7
	v_fmac_f16_e32 v17, 0xbcab, v13
	v_fmamk_f16 v6, v6, 0x2b26, v11
	v_fmamk_f16 v7, v14, 0x2b26, v12
	v_fma_f16 v13, v18, 0x39e0, -v20
	v_fma_f16 v14, v19, 0x39e0, -v23
	;; [unrolled: 1-line block ×4, first 2 shown]
	v_fmamk_f16 v18, v15, 0xb574, v21
	v_fmamk_f16 v19, v3, 0xb574, v22
	v_fma_f16 v4, v4, 0xbb00, -v21
	v_fma_f16 v2, v2, 0xbb00, -v22
	;; [unrolled: 1-line block ×4, first 2 shown]
	v_add_f16_e32 v6, v6, v0
	v_add_f16_e32 v7, v7, v17
	v_fmac_f16_e32 v18, 0xb70e, v5
	v_fmac_f16_e32 v19, 0xb70e, v1
	v_add_f16_e32 v13, v13, v0
	v_add_f16_e32 v14, v14, v17
	;; [unrolled: 1-line block ×4, first 2 shown]
	v_fmac_f16_e32 v4, 0xb70e, v5
	v_fmac_f16_e32 v3, 0xb70e, v1
	;; [unrolled: 1-line block ×4, first 2 shown]
	v_add_f16_e32 v1, v19, v6
	v_sub_f16_e32 v5, v7, v18
	v_add_f16_e32 v12, v3, v0
	v_sub_f16_e32 v17, v11, v15
	v_sub_f16_e32 v20, v13, v2
	v_add_f16_e32 v21, v4, v14
	v_add_f16_e32 v2, v2, v13
	v_sub_f16_e32 v4, v14, v4
	v_sub_f16_e32 v0, v0, v3
	v_add_f16_e32 v3, v15, v11
	v_sub_f16_e32 v6, v6, v19
	v_add_f16_e32 v7, v18, v7
	v_pack_b32_f16 v1, v1, v5
	v_pack_b32_f16 v5, v12, v17
	;; [unrolled: 1-line block ×6, first 2 shown]
	ds_store_2addr_b32 v29, v10, v1 offset1:119
	ds_store_2addr_b32 v9, v5, v11 offset0:110 offset1:229
	ds_store_2addr_b32 v16, v2, v0 offset0:92 offset1:211
	ds_store_b32 v29, v3 offset:2856
	global_wb scope:SCOPE_SE
	s_wait_dscnt 0x0
	s_barrier_signal -1
	s_barrier_wait -1
	global_inv scope:SCOPE_SE
	s_and_b32 exec_lo, exec_lo, vcc_lo
	s_cbranch_execz .LBB0_15
; %bb.14:
	global_load_b32 v0, v29, s[8:9]
	ds_load_b32 v1, v29
	s_mov_b32 s10, 0xca869b81
	s_mov_b32 s11, 0x3f53ab2d
	v_mad_co_u64_u32 v[6:7], null, s4, v30, 0
	s_wait_dscnt 0x0
	v_lshrrev_b32_e32 v2, 16, v1
	s_wait_loadcnt 0x0
	v_lshrrev_b32_e32 v3, 16, v0
	s_delay_alu instid0(VALU_DEP_1) | instskip(SKIP_1) | instid1(VALU_DEP_2)
	v_mul_f16_e32 v4, v2, v3
	v_mul_f16_e32 v3, v1, v3
	v_fmac_f16_e32 v4, v1, v0
	s_delay_alu instid0(VALU_DEP_2) | instskip(NEXT) | instid1(VALU_DEP_2)
	v_fma_f16 v0, v0, v2, -v3
	v_cvt_f32_f16_e32 v1, v4
	s_delay_alu instid0(VALU_DEP_2) | instskip(SKIP_1) | instid1(VALU_DEP_3)
	v_cvt_f32_f16_e32 v2, v0
	v_mad_co_u64_u32 v[4:5], null, s6, v8, 0
	v_cvt_f64_f32_e32 v[0:1], v1
	s_delay_alu instid0(VALU_DEP_3) | instskip(SKIP_1) | instid1(VALU_DEP_2)
	v_cvt_f64_f32_e32 v[2:3], v2
	s_wait_alu 0xfffe
	v_mul_f64_e32 v[0:1], s[10:11], v[0:1]
	s_delay_alu instid0(VALU_DEP_2) | instskip(NEXT) | instid1(VALU_DEP_2)
	v_mul_f64_e32 v[2:3], s[10:11], v[2:3]
	v_and_or_b32 v0, 0x1ff, v1, v0
	s_delay_alu instid0(VALU_DEP_2)
	v_and_or_b32 v2, 0x1ff, v3, v2
	v_lshrrev_b32_e32 v10, 8, v1
	v_bfe_u32 v12, v1, 20, 11
	v_bfe_u32 v13, v3, 20, 11
	v_cmp_ne_u32_e32 vcc_lo, 0, v0
	v_lshrrev_b32_e32 v11, 8, v3
	v_mov_b32_e32 v0, v7
	v_sub_nc_u32_e32 v15, 0x3f1, v12
	v_sub_nc_u32_e32 v16, 0x3f1, v13
	v_cndmask_b32_e64 v14, 0, 1, vcc_lo
	v_cmp_ne_u32_e32 vcc_lo, 0, v2
	v_mad_co_u64_u32 v[7:8], null, s7, v8, v[5:6]
	v_med3_i32 v8, v15, 0, 13
	s_delay_alu instid0(VALU_DEP_4)
	v_and_or_b32 v14, 0xffe, v10, v14
	s_wait_alu 0xfffd
	v_cndmask_b32_e64 v2, 0, 1, vcc_lo
	v_med3_i32 v15, v16, 0, 13
	v_lshrrev_b32_e32 v3, 16, v3
	v_mov_b32_e32 v5, v7
	s_delay_alu instid0(VALU_DEP_4) | instskip(SKIP_2) | instid1(VALU_DEP_4)
	v_and_or_b32 v2, 0xffe, v11, v2
	v_or_b32_e32 v16, 0x1000, v14
	v_mad_co_u64_u32 v[10:11], null, s5, v30, v[0:1]
	v_lshlrev_b64_e32 v[4:5], 2, v[4:5]
	s_delay_alu instid0(VALU_DEP_4) | instskip(NEXT) | instid1(VALU_DEP_4)
	v_or_b32_e32 v17, 0x1000, v2
	v_lshrrev_b32_e32 v0, v8, v16
	s_mul_u64 s[4:5], s[4:5], 0xc4
	s_delay_alu instid0(VALU_DEP_2) | instskip(NEXT) | instid1(VALU_DEP_2)
	v_lshrrev_b32_e32 v11, v15, v17
	v_dual_mov_b32 v7, v10 :: v_dual_lshlrev_b32 v8, v8, v0
	s_delay_alu instid0(VALU_DEP_2) | instskip(NEXT) | instid1(VALU_DEP_2)
	v_lshlrev_b32_e32 v10, v15, v11
	v_cmp_ne_u32_e32 vcc_lo, v8, v16
	s_wait_alu 0xfffd
	v_cndmask_b32_e64 v8, 0, 1, vcc_lo
	s_delay_alu instid0(VALU_DEP_3) | instskip(NEXT) | instid1(VALU_DEP_2)
	v_cmp_ne_u32_e32 vcc_lo, v10, v17
	v_or_b32_e32 v0, v0, v8
	v_add_nc_u32_e32 v13, 0xfffffc10, v13
	s_wait_alu 0xfffd
	v_cndmask_b32_e64 v10, 0, 1, vcc_lo
	s_delay_alu instid0(VALU_DEP_2) | instskip(NEXT) | instid1(VALU_DEP_2)
	v_lshl_or_b32 v8, v13, 12, v2
	v_or_b32_e32 v10, v11, v10
	v_add_nc_u32_e32 v12, 0xfffffc10, v12
	v_lshrrev_b32_e32 v11, 16, v1
	s_delay_alu instid0(VALU_DEP_2) | instskip(SKIP_2) | instid1(VALU_DEP_2)
	v_lshl_or_b32 v15, v12, 12, v14
	v_cmp_gt_i32_e32 vcc_lo, 1, v12
	s_wait_alu 0xfffd
	v_cndmask_b32_e32 v0, v15, v0, vcc_lo
	v_cmp_gt_i32_e32 vcc_lo, 1, v13
	s_wait_alu 0xfffd
	v_cndmask_b32_e32 v1, v8, v10, vcc_lo
	v_cmp_ne_u32_e32 vcc_lo, 0, v14
	v_and_b32_e32 v10, 7, v0
	v_lshrrev_b32_e32 v0, 2, v0
	s_delay_alu instid0(VALU_DEP_4)
	v_and_b32_e32 v14, 7, v1
	s_wait_alu 0xfffd
	v_cndmask_b32_e64 v8, 0, 1, vcc_lo
	v_cmp_ne_u32_e32 vcc_lo, 0, v2
	v_cmp_eq_u32_e64 s0, 3, v10
	v_lshrrev_b32_e32 v1, 2, v1
	v_cmp_lt_i32_e64 s1, 5, v14
	v_cmp_eq_u32_e64 s2, 3, v14
	s_wait_alu 0xfffd
	v_cndmask_b32_e64 v2, 0, 1, vcc_lo
	v_cmp_lt_i32_e32 vcc_lo, 5, v10
	v_lshl_or_b32 v8, v8, 9, 0x7c00
	s_delay_alu instid0(VALU_DEP_3)
	v_lshl_or_b32 v2, v2, 9, 0x7c00
	s_or_b32 vcc_lo, s0, vcc_lo
	s_wait_alu 0xfffe
	v_add_co_ci_u32_e32 v0, vcc_lo, 0, v0, vcc_lo
	s_or_b32 vcc_lo, s2, s1
	s_wait_alu 0xfffe
	v_add_co_ci_u32_e32 v1, vcc_lo, 0, v1, vcc_lo
	v_cmp_gt_i32_e32 vcc_lo, 31, v12
	s_wait_alu 0xfffd
	v_cndmask_b32_e32 v0, 0x7c00, v0, vcc_lo
	v_cmp_gt_i32_e32 vcc_lo, 31, v13
	s_wait_alu 0xfffd
	v_cndmask_b32_e32 v10, 0x7c00, v1, vcc_lo
	v_cmp_eq_u32_e32 vcc_lo, 0x40f, v12
	s_wait_alu 0xfffd
	v_cndmask_b32_e32 v8, v0, v8, vcc_lo
	v_cmp_eq_u32_e32 vcc_lo, 0x40f, v13
	v_lshlrev_b64_e32 v[0:1], 2, v[6:7]
	s_delay_alu instid0(VALU_DEP_3)
	v_and_or_b32 v6, 0x8000, v11, v8
	s_wait_alu 0xfffd
	v_cndmask_b32_e32 v2, v10, v2, vcc_lo
	v_add_co_u32 v4, vcc_lo, s12, v4
	s_wait_alu 0xfffd
	v_add_co_ci_u32_e32 v5, vcc_lo, s13, v5, vcc_lo
	s_delay_alu instid0(VALU_DEP_3) | instskip(SKIP_4) | instid1(VALU_DEP_3)
	v_and_or_b32 v2, 0x8000, v3, v2
	v_and_b32_e32 v3, 0xffff, v6
	v_add_co_u32 v0, vcc_lo, v4, v0
	s_wait_alu 0xfffd
	v_add_co_ci_u32_e32 v1, vcc_lo, v5, v1, vcc_lo
	v_lshl_or_b32 v2, v2, 16, v3
	global_store_b32 v[0:1], v2, off
	global_load_b32 v4, v29, s[8:9] offset:196
	ds_load_2addr_b32 v[2:3], v29 offset0:49 offset1:98
	s_wait_dscnt 0x0
	v_lshrrev_b32_e32 v5, 16, v2
	s_wait_loadcnt 0x0
	v_lshrrev_b32_e32 v6, 16, v4
	s_delay_alu instid0(VALU_DEP_1) | instskip(SKIP_1) | instid1(VALU_DEP_2)
	v_mul_f16_e32 v7, v5, v6
	v_mul_f16_e32 v6, v2, v6
	v_fmac_f16_e32 v7, v2, v4
	s_delay_alu instid0(VALU_DEP_2) | instskip(NEXT) | instid1(VALU_DEP_2)
	v_fma_f16 v2, v4, v5, -v6
	v_cvt_f32_f16_e32 v4, v7
	s_delay_alu instid0(VALU_DEP_2) | instskip(NEXT) | instid1(VALU_DEP_2)
	v_cvt_f32_f16_e32 v2, v2
	v_cvt_f64_f32_e32 v[4:5], v4
	s_delay_alu instid0(VALU_DEP_2) | instskip(NEXT) | instid1(VALU_DEP_2)
	v_cvt_f64_f32_e32 v[6:7], v2
	v_mul_f64_e32 v[4:5], s[10:11], v[4:5]
	s_delay_alu instid0(VALU_DEP_2) | instskip(NEXT) | instid1(VALU_DEP_2)
	v_mul_f64_e32 v[6:7], s[10:11], v[6:7]
	v_and_or_b32 v2, 0x1ff, v5, v4
	s_delay_alu instid0(VALU_DEP_2)
	v_and_or_b32 v6, 0x1ff, v7, v6
	v_lshrrev_b32_e32 v4, 8, v5
	v_bfe_u32 v8, v5, 20, 11
	v_lshrrev_b32_e32 v10, 8, v7
	v_cmp_ne_u32_e32 vcc_lo, 0, v2
	v_bfe_u32 v11, v7, 20, 11
	v_lshrrev_b32_e32 v5, 16, v5
	v_sub_nc_u32_e32 v12, 0x3f1, v8
	v_add_nc_u32_e32 v8, 0xfffffc10, v8
	s_wait_alu 0xfffd
	v_cndmask_b32_e64 v2, 0, 1, vcc_lo
	v_cmp_ne_u32_e32 vcc_lo, 0, v6
	v_lshrrev_b32_e32 v7, 16, v7
	s_delay_alu instid0(VALU_DEP_3) | instskip(SKIP_4) | instid1(VALU_DEP_3)
	v_and_or_b32 v2, 0xffe, v4, v2
	s_wait_alu 0xfffd
	v_cndmask_b32_e64 v6, 0, 1, vcc_lo
	v_sub_nc_u32_e32 v4, 0x3f1, v11
	v_add_nc_u32_e32 v11, 0xfffffc10, v11
	v_and_or_b32 v6, 0xffe, v10, v6
	v_med3_i32 v10, v12, 0, 13
	v_or_b32_e32 v12, 0x1000, v2
	v_med3_i32 v4, v4, 0, 13
	s_delay_alu instid0(VALU_DEP_4) | instskip(NEXT) | instid1(VALU_DEP_3)
	v_or_b32_e32 v13, 0x1000, v6
	v_lshrrev_b32_e32 v14, v10, v12
	s_delay_alu instid0(VALU_DEP_2) | instskip(NEXT) | instid1(VALU_DEP_2)
	v_lshrrev_b32_e32 v15, v4, v13
	v_lshlrev_b32_e32 v10, v10, v14
	s_delay_alu instid0(VALU_DEP_2) | instskip(NEXT) | instid1(VALU_DEP_2)
	v_lshlrev_b32_e32 v4, v4, v15
	v_cmp_ne_u32_e32 vcc_lo, v10, v12
	v_lshl_or_b32 v12, v8, 12, v2
	s_wait_alu 0xfffd
	v_cndmask_b32_e64 v10, 0, 1, vcc_lo
	v_cmp_ne_u32_e32 vcc_lo, v4, v13
	v_lshl_or_b32 v13, v11, 12, v6
	s_delay_alu instid0(VALU_DEP_3) | instskip(SKIP_3) | instid1(VALU_DEP_2)
	v_or_b32_e32 v10, v14, v10
	s_wait_alu 0xfffd
	v_cndmask_b32_e64 v4, 0, 1, vcc_lo
	v_cmp_gt_i32_e32 vcc_lo, 1, v8
	v_or_b32_e32 v4, v15, v4
	s_wait_alu 0xfffd
	v_cndmask_b32_e32 v10, v12, v10, vcc_lo
	v_cmp_gt_i32_e32 vcc_lo, 1, v11
	s_delay_alu instid0(VALU_DEP_2)
	v_and_b32_e32 v12, 7, v10
	s_wait_alu 0xfffd
	v_cndmask_b32_e32 v4, v13, v4, vcc_lo
	v_cmp_ne_u32_e32 vcc_lo, 0, v2
	v_lshrrev_b32_e32 v10, 2, v10
	v_cmp_eq_u32_e64 s0, 3, v12
	s_delay_alu instid0(VALU_DEP_4)
	v_and_b32_e32 v13, 7, v4
	s_wait_alu 0xfffd
	v_cndmask_b32_e64 v2, 0, 1, vcc_lo
	v_cmp_ne_u32_e32 vcc_lo, 0, v6
	v_lshrrev_b32_e32 v4, 2, v4
	v_cmp_lt_i32_e64 s1, 5, v13
	v_cmp_eq_u32_e64 s2, 3, v13
	s_wait_alu 0xfffd
	v_cndmask_b32_e64 v6, 0, 1, vcc_lo
	v_cmp_lt_i32_e32 vcc_lo, 5, v12
	v_lshl_or_b32 v2, v2, 9, 0x7c00
	s_delay_alu instid0(VALU_DEP_3)
	v_lshl_or_b32 v6, v6, 9, 0x7c00
	s_or_b32 vcc_lo, s0, vcc_lo
	s_wait_alu 0xfffe
	v_add_co_ci_u32_e32 v10, vcc_lo, 0, v10, vcc_lo
	s_or_b32 vcc_lo, s2, s1
	s_wait_alu 0xfffe
	v_add_co_ci_u32_e32 v4, vcc_lo, 0, v4, vcc_lo
	v_cmp_gt_i32_e32 vcc_lo, 31, v8
	s_wait_alu 0xfffd
	v_cndmask_b32_e32 v10, 0x7c00, v10, vcc_lo
	v_cmp_gt_i32_e32 vcc_lo, 31, v11
	s_wait_alu 0xfffd
	v_cndmask_b32_e32 v4, 0x7c00, v4, vcc_lo
	v_cmp_eq_u32_e32 vcc_lo, 0x40f, v8
	s_wait_alu 0xfffd
	v_cndmask_b32_e32 v2, v10, v2, vcc_lo
	v_cmp_eq_u32_e32 vcc_lo, 0x40f, v11
	s_delay_alu instid0(VALU_DEP_2)
	v_and_or_b32 v2, 0x8000, v5, v2
	s_wait_alu 0xfffd
	v_cndmask_b32_e32 v4, v4, v6, vcc_lo
	v_add_co_u32 v0, vcc_lo, v0, s4
	s_wait_alu 0xfffd
	v_add_co_ci_u32_e32 v1, vcc_lo, s5, v1, vcc_lo
	s_delay_alu instid0(VALU_DEP_3) | instskip(SKIP_1) | instid1(VALU_DEP_1)
	v_and_or_b32 v4, 0x8000, v7, v4
	v_and_b32_e32 v2, 0xffff, v2
	v_lshl_or_b32 v2, v4, 16, v2
	v_lshrrev_b32_e32 v4, 16, v3
	global_store_b32 v[0:1], v2, off
	global_load_b32 v2, v29, s[8:9] offset:392
	s_wait_loadcnt 0x0
	v_lshrrev_b32_e32 v5, 16, v2
	s_delay_alu instid0(VALU_DEP_1) | instskip(SKIP_1) | instid1(VALU_DEP_2)
	v_mul_f16_e32 v6, v4, v5
	v_mul_f16_e32 v5, v3, v5
	v_fmac_f16_e32 v6, v3, v2
	s_delay_alu instid0(VALU_DEP_2) | instskip(NEXT) | instid1(VALU_DEP_2)
	v_fma_f16 v2, v2, v4, -v5
	v_cvt_f32_f16_e32 v3, v6
	s_delay_alu instid0(VALU_DEP_2) | instskip(NEXT) | instid1(VALU_DEP_2)
	v_cvt_f32_f16_e32 v4, v2
	v_cvt_f64_f32_e32 v[2:3], v3
	s_delay_alu instid0(VALU_DEP_2) | instskip(NEXT) | instid1(VALU_DEP_2)
	v_cvt_f64_f32_e32 v[4:5], v4
	v_mul_f64_e32 v[2:3], s[10:11], v[2:3]
	s_delay_alu instid0(VALU_DEP_2) | instskip(NEXT) | instid1(VALU_DEP_2)
	v_mul_f64_e32 v[4:5], s[10:11], v[4:5]
	v_and_or_b32 v2, 0x1ff, v3, v2
	s_delay_alu instid0(VALU_DEP_2)
	v_and_or_b32 v4, 0x1ff, v5, v4
	v_lshrrev_b32_e32 v6, 8, v3
	v_bfe_u32 v7, v3, 20, 11
	v_lshrrev_b32_e32 v8, 8, v5
	v_cmp_ne_u32_e32 vcc_lo, 0, v2
	v_bfe_u32 v10, v5, 20, 11
	v_lshrrev_b32_e32 v3, 16, v3
	v_sub_nc_u32_e32 v11, 0x3f1, v7
	v_add_nc_u32_e32 v7, 0xfffffc10, v7
	s_wait_alu 0xfffd
	v_cndmask_b32_e64 v2, 0, 1, vcc_lo
	v_cmp_ne_u32_e32 vcc_lo, 0, v4
	v_lshrrev_b32_e32 v5, 16, v5
	s_delay_alu instid0(VALU_DEP_3) | instskip(SKIP_4) | instid1(VALU_DEP_3)
	v_and_or_b32 v2, 0xffe, v6, v2
	s_wait_alu 0xfffd
	v_cndmask_b32_e64 v4, 0, 1, vcc_lo
	v_sub_nc_u32_e32 v6, 0x3f1, v10
	v_add_nc_u32_e32 v10, 0xfffffc10, v10
	v_and_or_b32 v4, 0xffe, v8, v4
	v_med3_i32 v8, v11, 0, 13
	v_or_b32_e32 v11, 0x1000, v2
	v_med3_i32 v6, v6, 0, 13
	s_delay_alu instid0(VALU_DEP_4) | instskip(NEXT) | instid1(VALU_DEP_3)
	v_or_b32_e32 v12, 0x1000, v4
	v_lshrrev_b32_e32 v13, v8, v11
	s_delay_alu instid0(VALU_DEP_2) | instskip(NEXT) | instid1(VALU_DEP_2)
	v_lshrrev_b32_e32 v14, v6, v12
	v_lshlrev_b32_e32 v8, v8, v13
	s_delay_alu instid0(VALU_DEP_2) | instskip(NEXT) | instid1(VALU_DEP_2)
	v_lshlrev_b32_e32 v6, v6, v14
	v_cmp_ne_u32_e32 vcc_lo, v8, v11
	v_lshl_or_b32 v11, v7, 12, v2
	s_wait_alu 0xfffd
	v_cndmask_b32_e64 v8, 0, 1, vcc_lo
	v_cmp_ne_u32_e32 vcc_lo, v6, v12
	v_lshl_or_b32 v12, v10, 12, v4
	s_delay_alu instid0(VALU_DEP_3) | instskip(SKIP_3) | instid1(VALU_DEP_2)
	v_or_b32_e32 v8, v13, v8
	s_wait_alu 0xfffd
	v_cndmask_b32_e64 v6, 0, 1, vcc_lo
	v_cmp_gt_i32_e32 vcc_lo, 1, v7
	v_or_b32_e32 v6, v14, v6
	s_wait_alu 0xfffd
	v_cndmask_b32_e32 v8, v11, v8, vcc_lo
	v_cmp_gt_i32_e32 vcc_lo, 1, v10
	s_wait_alu 0xfffd
	s_delay_alu instid0(VALU_DEP_2) | instskip(SKIP_2) | instid1(VALU_DEP_3)
	v_dual_cndmask_b32 v6, v12, v6 :: v_dual_and_b32 v11, 7, v8
	v_cmp_ne_u32_e32 vcc_lo, 0, v2
	v_lshrrev_b32_e32 v8, 2, v8
	v_cmp_eq_u32_e64 s0, 3, v11
	s_delay_alu instid0(VALU_DEP_4)
	v_and_b32_e32 v12, 7, v6
	s_wait_alu 0xfffd
	v_cndmask_b32_e64 v2, 0, 1, vcc_lo
	v_cmp_ne_u32_e32 vcc_lo, 0, v4
	v_lshrrev_b32_e32 v6, 2, v6
	v_cmp_lt_i32_e64 s1, 5, v12
	v_cmp_eq_u32_e64 s2, 3, v12
	s_wait_alu 0xfffd
	v_cndmask_b32_e64 v4, 0, 1, vcc_lo
	v_cmp_lt_i32_e32 vcc_lo, 5, v11
	v_lshl_or_b32 v2, v2, 9, 0x7c00
	s_delay_alu instid0(VALU_DEP_3)
	v_lshl_or_b32 v4, v4, 9, 0x7c00
	s_or_b32 vcc_lo, s0, vcc_lo
	s_wait_alu 0xfffe
	v_add_co_ci_u32_e32 v8, vcc_lo, 0, v8, vcc_lo
	s_or_b32 vcc_lo, s2, s1
	s_wait_alu 0xfffe
	v_add_co_ci_u32_e32 v6, vcc_lo, 0, v6, vcc_lo
	v_cmp_gt_i32_e32 vcc_lo, 31, v7
	s_wait_alu 0xfffd
	v_cndmask_b32_e32 v8, 0x7c00, v8, vcc_lo
	v_cmp_gt_i32_e32 vcc_lo, 31, v10
	s_wait_alu 0xfffd
	v_cndmask_b32_e32 v6, 0x7c00, v6, vcc_lo
	v_cmp_eq_u32_e32 vcc_lo, 0x40f, v7
	s_wait_alu 0xfffd
	v_cndmask_b32_e32 v2, v8, v2, vcc_lo
	v_cmp_eq_u32_e32 vcc_lo, 0x40f, v10
	s_delay_alu instid0(VALU_DEP_2)
	v_and_or_b32 v2, 0x8000, v3, v2
	s_wait_alu 0xfffd
	v_cndmask_b32_e32 v4, v6, v4, vcc_lo
	v_add_co_u32 v0, vcc_lo, v0, s4
	s_wait_alu 0xfffd
	v_add_co_ci_u32_e32 v1, vcc_lo, s5, v1, vcc_lo
	s_delay_alu instid0(VALU_DEP_3) | instskip(SKIP_1) | instid1(VALU_DEP_1)
	v_and_or_b32 v3, 0x8000, v5, v4
	v_and_b32_e32 v2, 0xffff, v2
	v_lshl_or_b32 v2, v3, 16, v2
	global_store_b32 v[0:1], v2, off
	global_load_b32 v4, v29, s[8:9] offset:588
	ds_load_2addr_b32 v[2:3], v29 offset0:147 offset1:196
	s_wait_dscnt 0x0
	v_lshrrev_b32_e32 v5, 16, v2
	s_wait_loadcnt 0x0
	v_lshrrev_b32_e32 v6, 16, v4
	s_delay_alu instid0(VALU_DEP_1) | instskip(SKIP_1) | instid1(VALU_DEP_2)
	v_mul_f16_e32 v7, v5, v6
	v_mul_f16_e32 v6, v2, v6
	v_fmac_f16_e32 v7, v2, v4
	s_delay_alu instid0(VALU_DEP_2) | instskip(NEXT) | instid1(VALU_DEP_2)
	v_fma_f16 v2, v4, v5, -v6
	v_cvt_f32_f16_e32 v4, v7
	s_delay_alu instid0(VALU_DEP_2) | instskip(NEXT) | instid1(VALU_DEP_2)
	v_cvt_f32_f16_e32 v2, v2
	v_cvt_f64_f32_e32 v[4:5], v4
	s_delay_alu instid0(VALU_DEP_2) | instskip(NEXT) | instid1(VALU_DEP_2)
	v_cvt_f64_f32_e32 v[6:7], v2
	v_mul_f64_e32 v[4:5], s[10:11], v[4:5]
	s_delay_alu instid0(VALU_DEP_2) | instskip(NEXT) | instid1(VALU_DEP_2)
	v_mul_f64_e32 v[6:7], s[10:11], v[6:7]
	v_and_or_b32 v2, 0x1ff, v5, v4
	s_delay_alu instid0(VALU_DEP_2)
	v_and_or_b32 v6, 0x1ff, v7, v6
	v_lshrrev_b32_e32 v4, 8, v5
	v_bfe_u32 v8, v5, 20, 11
	v_lshrrev_b32_e32 v10, 8, v7
	v_cmp_ne_u32_e32 vcc_lo, 0, v2
	v_bfe_u32 v11, v7, 20, 11
	v_lshrrev_b32_e32 v5, 16, v5
	v_sub_nc_u32_e32 v12, 0x3f1, v8
	v_add_nc_u32_e32 v8, 0xfffffc10, v8
	s_wait_alu 0xfffd
	v_cndmask_b32_e64 v2, 0, 1, vcc_lo
	v_cmp_ne_u32_e32 vcc_lo, 0, v6
	v_lshrrev_b32_e32 v7, 16, v7
	s_delay_alu instid0(VALU_DEP_3) | instskip(SKIP_4) | instid1(VALU_DEP_3)
	v_and_or_b32 v2, 0xffe, v4, v2
	s_wait_alu 0xfffd
	v_cndmask_b32_e64 v6, 0, 1, vcc_lo
	v_sub_nc_u32_e32 v4, 0x3f1, v11
	v_add_nc_u32_e32 v11, 0xfffffc10, v11
	v_and_or_b32 v6, 0xffe, v10, v6
	v_med3_i32 v10, v12, 0, 13
	v_or_b32_e32 v12, 0x1000, v2
	v_med3_i32 v4, v4, 0, 13
	s_delay_alu instid0(VALU_DEP_4) | instskip(NEXT) | instid1(VALU_DEP_3)
	v_or_b32_e32 v13, 0x1000, v6
	v_lshrrev_b32_e32 v14, v10, v12
	s_delay_alu instid0(VALU_DEP_2) | instskip(NEXT) | instid1(VALU_DEP_2)
	v_lshrrev_b32_e32 v15, v4, v13
	v_lshlrev_b32_e32 v10, v10, v14
	s_delay_alu instid0(VALU_DEP_2) | instskip(NEXT) | instid1(VALU_DEP_2)
	v_lshlrev_b32_e32 v4, v4, v15
	v_cmp_ne_u32_e32 vcc_lo, v10, v12
	v_lshl_or_b32 v12, v8, 12, v2
	s_wait_alu 0xfffd
	v_cndmask_b32_e64 v10, 0, 1, vcc_lo
	v_cmp_ne_u32_e32 vcc_lo, v4, v13
	v_lshl_or_b32 v13, v11, 12, v6
	s_delay_alu instid0(VALU_DEP_3) | instskip(SKIP_3) | instid1(VALU_DEP_2)
	v_or_b32_e32 v10, v14, v10
	s_wait_alu 0xfffd
	v_cndmask_b32_e64 v4, 0, 1, vcc_lo
	v_cmp_gt_i32_e32 vcc_lo, 1, v8
	v_or_b32_e32 v4, v15, v4
	s_wait_alu 0xfffd
	v_cndmask_b32_e32 v10, v12, v10, vcc_lo
	v_cmp_gt_i32_e32 vcc_lo, 1, v11
	s_delay_alu instid0(VALU_DEP_2)
	v_and_b32_e32 v12, 7, v10
	s_wait_alu 0xfffd
	v_cndmask_b32_e32 v4, v13, v4, vcc_lo
	v_cmp_ne_u32_e32 vcc_lo, 0, v2
	v_lshrrev_b32_e32 v10, 2, v10
	v_cmp_eq_u32_e64 s0, 3, v12
	s_delay_alu instid0(VALU_DEP_4)
	v_and_b32_e32 v13, 7, v4
	s_wait_alu 0xfffd
	v_cndmask_b32_e64 v2, 0, 1, vcc_lo
	v_cmp_ne_u32_e32 vcc_lo, 0, v6
	v_lshrrev_b32_e32 v4, 2, v4
	v_cmp_lt_i32_e64 s1, 5, v13
	v_cmp_eq_u32_e64 s2, 3, v13
	s_wait_alu 0xfffd
	v_cndmask_b32_e64 v6, 0, 1, vcc_lo
	v_cmp_lt_i32_e32 vcc_lo, 5, v12
	v_lshl_or_b32 v2, v2, 9, 0x7c00
	s_delay_alu instid0(VALU_DEP_3)
	v_lshl_or_b32 v6, v6, 9, 0x7c00
	s_or_b32 vcc_lo, s0, vcc_lo
	s_wait_alu 0xfffe
	v_add_co_ci_u32_e32 v10, vcc_lo, 0, v10, vcc_lo
	s_or_b32 vcc_lo, s2, s1
	s_wait_alu 0xfffe
	v_add_co_ci_u32_e32 v4, vcc_lo, 0, v4, vcc_lo
	v_cmp_gt_i32_e32 vcc_lo, 31, v8
	s_wait_alu 0xfffd
	v_cndmask_b32_e32 v10, 0x7c00, v10, vcc_lo
	v_cmp_gt_i32_e32 vcc_lo, 31, v11
	s_wait_alu 0xfffd
	v_cndmask_b32_e32 v4, 0x7c00, v4, vcc_lo
	v_cmp_eq_u32_e32 vcc_lo, 0x40f, v8
	s_wait_alu 0xfffd
	v_cndmask_b32_e32 v2, v10, v2, vcc_lo
	v_cmp_eq_u32_e32 vcc_lo, 0x40f, v11
	s_delay_alu instid0(VALU_DEP_2)
	v_and_or_b32 v2, 0x8000, v5, v2
	s_wait_alu 0xfffd
	v_cndmask_b32_e32 v4, v4, v6, vcc_lo
	v_add_co_u32 v0, vcc_lo, v0, s4
	s_wait_alu 0xfffd
	v_add_co_ci_u32_e32 v1, vcc_lo, s5, v1, vcc_lo
	s_delay_alu instid0(VALU_DEP_3) | instskip(SKIP_1) | instid1(VALU_DEP_1)
	v_and_or_b32 v4, 0x8000, v7, v4
	v_and_b32_e32 v2, 0xffff, v2
	v_lshl_or_b32 v2, v4, 16, v2
	v_lshrrev_b32_e32 v4, 16, v3
	global_store_b32 v[0:1], v2, off
	global_load_b32 v2, v29, s[8:9] offset:784
	s_wait_loadcnt 0x0
	v_lshrrev_b32_e32 v5, 16, v2
	s_delay_alu instid0(VALU_DEP_1) | instskip(SKIP_1) | instid1(VALU_DEP_2)
	v_mul_f16_e32 v6, v4, v5
	v_mul_f16_e32 v5, v3, v5
	v_fmac_f16_e32 v6, v3, v2
	s_delay_alu instid0(VALU_DEP_2) | instskip(NEXT) | instid1(VALU_DEP_2)
	v_fma_f16 v2, v2, v4, -v5
	v_cvt_f32_f16_e32 v3, v6
	s_delay_alu instid0(VALU_DEP_2) | instskip(NEXT) | instid1(VALU_DEP_2)
	v_cvt_f32_f16_e32 v4, v2
	v_cvt_f64_f32_e32 v[2:3], v3
	s_delay_alu instid0(VALU_DEP_2) | instskip(NEXT) | instid1(VALU_DEP_2)
	v_cvt_f64_f32_e32 v[4:5], v4
	v_mul_f64_e32 v[2:3], s[10:11], v[2:3]
	s_delay_alu instid0(VALU_DEP_2) | instskip(NEXT) | instid1(VALU_DEP_2)
	v_mul_f64_e32 v[4:5], s[10:11], v[4:5]
	v_and_or_b32 v2, 0x1ff, v3, v2
	s_delay_alu instid0(VALU_DEP_2)
	v_and_or_b32 v4, 0x1ff, v5, v4
	v_lshrrev_b32_e32 v6, 8, v3
	v_bfe_u32 v7, v3, 20, 11
	v_lshrrev_b32_e32 v8, 8, v5
	v_cmp_ne_u32_e32 vcc_lo, 0, v2
	v_bfe_u32 v10, v5, 20, 11
	v_lshrrev_b32_e32 v3, 16, v3
	v_sub_nc_u32_e32 v11, 0x3f1, v7
	v_add_nc_u32_e32 v7, 0xfffffc10, v7
	s_wait_alu 0xfffd
	v_cndmask_b32_e64 v2, 0, 1, vcc_lo
	v_cmp_ne_u32_e32 vcc_lo, 0, v4
	v_lshrrev_b32_e32 v5, 16, v5
	s_delay_alu instid0(VALU_DEP_3) | instskip(SKIP_4) | instid1(VALU_DEP_3)
	v_and_or_b32 v2, 0xffe, v6, v2
	s_wait_alu 0xfffd
	v_cndmask_b32_e64 v4, 0, 1, vcc_lo
	v_sub_nc_u32_e32 v6, 0x3f1, v10
	v_add_nc_u32_e32 v10, 0xfffffc10, v10
	v_and_or_b32 v4, 0xffe, v8, v4
	v_med3_i32 v8, v11, 0, 13
	v_or_b32_e32 v11, 0x1000, v2
	v_med3_i32 v6, v6, 0, 13
	s_delay_alu instid0(VALU_DEP_4) | instskip(NEXT) | instid1(VALU_DEP_3)
	v_or_b32_e32 v12, 0x1000, v4
	v_lshrrev_b32_e32 v13, v8, v11
	s_delay_alu instid0(VALU_DEP_2) | instskip(NEXT) | instid1(VALU_DEP_2)
	v_lshrrev_b32_e32 v14, v6, v12
	v_lshlrev_b32_e32 v8, v8, v13
	s_delay_alu instid0(VALU_DEP_2) | instskip(NEXT) | instid1(VALU_DEP_2)
	v_lshlrev_b32_e32 v6, v6, v14
	v_cmp_ne_u32_e32 vcc_lo, v8, v11
	v_lshl_or_b32 v11, v7, 12, v2
	s_wait_alu 0xfffd
	v_cndmask_b32_e64 v8, 0, 1, vcc_lo
	v_cmp_ne_u32_e32 vcc_lo, v6, v12
	v_lshl_or_b32 v12, v10, 12, v4
	s_delay_alu instid0(VALU_DEP_3) | instskip(SKIP_3) | instid1(VALU_DEP_2)
	v_or_b32_e32 v8, v13, v8
	s_wait_alu 0xfffd
	v_cndmask_b32_e64 v6, 0, 1, vcc_lo
	v_cmp_gt_i32_e32 vcc_lo, 1, v7
	v_or_b32_e32 v6, v14, v6
	s_wait_alu 0xfffd
	v_cndmask_b32_e32 v8, v11, v8, vcc_lo
	v_cmp_gt_i32_e32 vcc_lo, 1, v10
	s_wait_alu 0xfffd
	s_delay_alu instid0(VALU_DEP_2) | instskip(SKIP_2) | instid1(VALU_DEP_3)
	v_dual_cndmask_b32 v6, v12, v6 :: v_dual_and_b32 v11, 7, v8
	v_cmp_ne_u32_e32 vcc_lo, 0, v2
	v_lshrrev_b32_e32 v8, 2, v8
	v_cmp_eq_u32_e64 s0, 3, v11
	s_delay_alu instid0(VALU_DEP_4)
	v_and_b32_e32 v12, 7, v6
	s_wait_alu 0xfffd
	v_cndmask_b32_e64 v2, 0, 1, vcc_lo
	v_cmp_ne_u32_e32 vcc_lo, 0, v4
	v_lshrrev_b32_e32 v6, 2, v6
	v_cmp_lt_i32_e64 s1, 5, v12
	v_cmp_eq_u32_e64 s2, 3, v12
	s_wait_alu 0xfffd
	v_cndmask_b32_e64 v4, 0, 1, vcc_lo
	v_cmp_lt_i32_e32 vcc_lo, 5, v11
	v_lshl_or_b32 v2, v2, 9, 0x7c00
	s_delay_alu instid0(VALU_DEP_3)
	v_lshl_or_b32 v4, v4, 9, 0x7c00
	s_or_b32 vcc_lo, s0, vcc_lo
	s_wait_alu 0xfffe
	v_add_co_ci_u32_e32 v8, vcc_lo, 0, v8, vcc_lo
	s_or_b32 vcc_lo, s2, s1
	s_wait_alu 0xfffe
	v_add_co_ci_u32_e32 v6, vcc_lo, 0, v6, vcc_lo
	v_cmp_gt_i32_e32 vcc_lo, 31, v7
	s_wait_alu 0xfffd
	v_cndmask_b32_e32 v8, 0x7c00, v8, vcc_lo
	v_cmp_gt_i32_e32 vcc_lo, 31, v10
	s_wait_alu 0xfffd
	v_cndmask_b32_e32 v6, 0x7c00, v6, vcc_lo
	v_cmp_eq_u32_e32 vcc_lo, 0x40f, v7
	s_wait_alu 0xfffd
	v_cndmask_b32_e32 v2, v8, v2, vcc_lo
	v_cmp_eq_u32_e32 vcc_lo, 0x40f, v10
	s_delay_alu instid0(VALU_DEP_2)
	v_and_or_b32 v2, 0x8000, v3, v2
	s_wait_alu 0xfffd
	v_cndmask_b32_e32 v4, v6, v4, vcc_lo
	v_add_co_u32 v0, vcc_lo, v0, s4
	s_wait_alu 0xfffd
	v_add_co_ci_u32_e32 v1, vcc_lo, s5, v1, vcc_lo
	s_delay_alu instid0(VALU_DEP_3) | instskip(SKIP_1) | instid1(VALU_DEP_1)
	v_and_or_b32 v3, 0x8000, v5, v4
	v_and_b32_e32 v2, 0xffff, v2
	v_lshl_or_b32 v2, v3, 16, v2
	global_store_b32 v[0:1], v2, off
	global_load_b32 v4, v29, s[8:9] offset:980
	ds_load_2addr_b32 v[2:3], v9 offset0:117 offset1:166
	s_wait_dscnt 0x0
	v_lshrrev_b32_e32 v5, 16, v2
	s_wait_loadcnt 0x0
	v_lshrrev_b32_e32 v6, 16, v4
	s_delay_alu instid0(VALU_DEP_1) | instskip(SKIP_1) | instid1(VALU_DEP_2)
	v_mul_f16_e32 v7, v5, v6
	v_mul_f16_e32 v6, v2, v6
	v_fmac_f16_e32 v7, v2, v4
	s_delay_alu instid0(VALU_DEP_2) | instskip(NEXT) | instid1(VALU_DEP_2)
	v_fma_f16 v2, v4, v5, -v6
	v_cvt_f32_f16_e32 v4, v7
	s_delay_alu instid0(VALU_DEP_2) | instskip(NEXT) | instid1(VALU_DEP_2)
	v_cvt_f32_f16_e32 v2, v2
	v_cvt_f64_f32_e32 v[4:5], v4
	s_delay_alu instid0(VALU_DEP_2) | instskip(NEXT) | instid1(VALU_DEP_2)
	v_cvt_f64_f32_e32 v[6:7], v2
	v_mul_f64_e32 v[4:5], s[10:11], v[4:5]
	s_delay_alu instid0(VALU_DEP_2) | instskip(NEXT) | instid1(VALU_DEP_2)
	v_mul_f64_e32 v[6:7], s[10:11], v[6:7]
	v_and_or_b32 v2, 0x1ff, v5, v4
	s_delay_alu instid0(VALU_DEP_2)
	v_and_or_b32 v6, 0x1ff, v7, v6
	v_lshrrev_b32_e32 v4, 8, v5
	v_bfe_u32 v8, v5, 20, 11
	v_lshrrev_b32_e32 v9, 8, v7
	v_cmp_ne_u32_e32 vcc_lo, 0, v2
	v_bfe_u32 v10, v7, 20, 11
	v_lshrrev_b32_e32 v5, 16, v5
	v_sub_nc_u32_e32 v11, 0x3f1, v8
	v_add_nc_u32_e32 v8, 0xfffffc10, v8
	s_wait_alu 0xfffd
	v_cndmask_b32_e64 v2, 0, 1, vcc_lo
	v_cmp_ne_u32_e32 vcc_lo, 0, v6
	v_lshrrev_b32_e32 v7, 16, v7
	s_delay_alu instid0(VALU_DEP_3) | instskip(SKIP_4) | instid1(VALU_DEP_3)
	v_and_or_b32 v2, 0xffe, v4, v2
	s_wait_alu 0xfffd
	v_cndmask_b32_e64 v6, 0, 1, vcc_lo
	v_sub_nc_u32_e32 v4, 0x3f1, v10
	v_add_nc_u32_e32 v10, 0xfffffc10, v10
	v_and_or_b32 v6, 0xffe, v9, v6
	v_med3_i32 v9, v11, 0, 13
	v_or_b32_e32 v11, 0x1000, v2
	v_med3_i32 v4, v4, 0, 13
	s_delay_alu instid0(VALU_DEP_4) | instskip(NEXT) | instid1(VALU_DEP_3)
	v_or_b32_e32 v12, 0x1000, v6
	v_lshrrev_b32_e32 v13, v9, v11
	s_delay_alu instid0(VALU_DEP_2) | instskip(NEXT) | instid1(VALU_DEP_2)
	v_lshrrev_b32_e32 v14, v4, v12
	v_lshlrev_b32_e32 v9, v9, v13
	s_delay_alu instid0(VALU_DEP_2) | instskip(NEXT) | instid1(VALU_DEP_2)
	v_lshlrev_b32_e32 v4, v4, v14
	v_cmp_ne_u32_e32 vcc_lo, v9, v11
	v_lshl_or_b32 v11, v8, 12, v2
	s_wait_alu 0xfffd
	v_cndmask_b32_e64 v9, 0, 1, vcc_lo
	v_cmp_ne_u32_e32 vcc_lo, v4, v12
	v_lshl_or_b32 v12, v10, 12, v6
	s_delay_alu instid0(VALU_DEP_3) | instskip(SKIP_3) | instid1(VALU_DEP_2)
	v_or_b32_e32 v9, v13, v9
	s_wait_alu 0xfffd
	v_cndmask_b32_e64 v4, 0, 1, vcc_lo
	v_cmp_gt_i32_e32 vcc_lo, 1, v8
	v_or_b32_e32 v4, v14, v4
	s_wait_alu 0xfffd
	v_cndmask_b32_e32 v9, v11, v9, vcc_lo
	v_cmp_gt_i32_e32 vcc_lo, 1, v10
	s_wait_alu 0xfffd
	s_delay_alu instid0(VALU_DEP_2) | instskip(SKIP_2) | instid1(VALU_DEP_3)
	v_dual_cndmask_b32 v4, v12, v4 :: v_dual_and_b32 v11, 7, v9
	v_cmp_ne_u32_e32 vcc_lo, 0, v2
	v_lshrrev_b32_e32 v9, 2, v9
	v_cmp_eq_u32_e64 s0, 3, v11
	s_delay_alu instid0(VALU_DEP_4)
	v_and_b32_e32 v12, 7, v4
	s_wait_alu 0xfffd
	v_cndmask_b32_e64 v2, 0, 1, vcc_lo
	v_cmp_ne_u32_e32 vcc_lo, 0, v6
	v_lshrrev_b32_e32 v4, 2, v4
	v_cmp_lt_i32_e64 s1, 5, v12
	v_cmp_eq_u32_e64 s2, 3, v12
	s_wait_alu 0xfffd
	v_cndmask_b32_e64 v6, 0, 1, vcc_lo
	v_cmp_lt_i32_e32 vcc_lo, 5, v11
	v_lshl_or_b32 v2, v2, 9, 0x7c00
	s_delay_alu instid0(VALU_DEP_3)
	v_lshl_or_b32 v6, v6, 9, 0x7c00
	s_or_b32 vcc_lo, s0, vcc_lo
	s_wait_alu 0xfffe
	v_add_co_ci_u32_e32 v9, vcc_lo, 0, v9, vcc_lo
	s_or_b32 vcc_lo, s2, s1
	s_wait_alu 0xfffe
	v_add_co_ci_u32_e32 v4, vcc_lo, 0, v4, vcc_lo
	v_cmp_gt_i32_e32 vcc_lo, 31, v8
	s_wait_alu 0xfffd
	v_cndmask_b32_e32 v9, 0x7c00, v9, vcc_lo
	v_cmp_gt_i32_e32 vcc_lo, 31, v10
	s_wait_alu 0xfffd
	v_cndmask_b32_e32 v4, 0x7c00, v4, vcc_lo
	v_cmp_eq_u32_e32 vcc_lo, 0x40f, v8
	s_wait_alu 0xfffd
	v_cndmask_b32_e32 v2, v9, v2, vcc_lo
	v_cmp_eq_u32_e32 vcc_lo, 0x40f, v10
	s_delay_alu instid0(VALU_DEP_2)
	v_and_or_b32 v2, 0x8000, v5, v2
	s_wait_alu 0xfffd
	v_cndmask_b32_e32 v4, v4, v6, vcc_lo
	v_add_co_u32 v0, vcc_lo, v0, s4
	s_wait_alu 0xfffd
	v_add_co_ci_u32_e32 v1, vcc_lo, s5, v1, vcc_lo
	s_delay_alu instid0(VALU_DEP_3) | instskip(SKIP_1) | instid1(VALU_DEP_1)
	v_and_or_b32 v4, 0x8000, v7, v4
	v_and_b32_e32 v2, 0xffff, v2
	v_lshl_or_b32 v2, v4, 16, v2
	v_lshrrev_b32_e32 v4, 16, v3
	global_store_b32 v[0:1], v2, off
	global_load_b32 v2, v29, s[8:9] offset:1176
	s_wait_loadcnt 0x0
	v_lshrrev_b32_e32 v5, 16, v2
	s_delay_alu instid0(VALU_DEP_1) | instskip(SKIP_1) | instid1(VALU_DEP_2)
	v_mul_f16_e32 v6, v4, v5
	v_mul_f16_e32 v5, v3, v5
	v_fmac_f16_e32 v6, v3, v2
	s_delay_alu instid0(VALU_DEP_2) | instskip(NEXT) | instid1(VALU_DEP_2)
	v_fma_f16 v2, v2, v4, -v5
	v_cvt_f32_f16_e32 v3, v6
	s_delay_alu instid0(VALU_DEP_2) | instskip(NEXT) | instid1(VALU_DEP_2)
	v_cvt_f32_f16_e32 v4, v2
	v_cvt_f64_f32_e32 v[2:3], v3
	s_delay_alu instid0(VALU_DEP_2) | instskip(NEXT) | instid1(VALU_DEP_2)
	v_cvt_f64_f32_e32 v[4:5], v4
	v_mul_f64_e32 v[2:3], s[10:11], v[2:3]
	s_delay_alu instid0(VALU_DEP_2) | instskip(NEXT) | instid1(VALU_DEP_2)
	v_mul_f64_e32 v[4:5], s[10:11], v[4:5]
	v_and_or_b32 v2, 0x1ff, v3, v2
	s_delay_alu instid0(VALU_DEP_2)
	v_and_or_b32 v4, 0x1ff, v5, v4
	v_lshrrev_b32_e32 v6, 8, v3
	v_bfe_u32 v7, v3, 20, 11
	v_lshrrev_b32_e32 v8, 8, v5
	v_cmp_ne_u32_e32 vcc_lo, 0, v2
	v_bfe_u32 v9, v5, 20, 11
	v_lshrrev_b32_e32 v3, 16, v3
	v_sub_nc_u32_e32 v10, 0x3f1, v7
	v_add_nc_u32_e32 v7, 0xfffffc10, v7
	s_wait_alu 0xfffd
	v_cndmask_b32_e64 v2, 0, 1, vcc_lo
	v_cmp_ne_u32_e32 vcc_lo, 0, v4
	v_lshrrev_b32_e32 v5, 16, v5
	s_delay_alu instid0(VALU_DEP_3) | instskip(SKIP_4) | instid1(VALU_DEP_3)
	v_and_or_b32 v2, 0xffe, v6, v2
	s_wait_alu 0xfffd
	v_cndmask_b32_e64 v4, 0, 1, vcc_lo
	v_sub_nc_u32_e32 v6, 0x3f1, v9
	v_add_nc_u32_e32 v9, 0xfffffc10, v9
	v_and_or_b32 v4, 0xffe, v8, v4
	v_med3_i32 v8, v10, 0, 13
	v_or_b32_e32 v10, 0x1000, v2
	v_med3_i32 v6, v6, 0, 13
	s_delay_alu instid0(VALU_DEP_4) | instskip(NEXT) | instid1(VALU_DEP_3)
	v_or_b32_e32 v11, 0x1000, v4
	v_lshrrev_b32_e32 v12, v8, v10
	s_delay_alu instid0(VALU_DEP_2) | instskip(NEXT) | instid1(VALU_DEP_2)
	v_lshrrev_b32_e32 v13, v6, v11
	v_lshlrev_b32_e32 v8, v8, v12
	s_delay_alu instid0(VALU_DEP_2) | instskip(NEXT) | instid1(VALU_DEP_2)
	v_lshlrev_b32_e32 v6, v6, v13
	v_cmp_ne_u32_e32 vcc_lo, v8, v10
	v_lshl_or_b32 v10, v7, 12, v2
	s_wait_alu 0xfffd
	v_cndmask_b32_e64 v8, 0, 1, vcc_lo
	v_cmp_ne_u32_e32 vcc_lo, v6, v11
	v_lshl_or_b32 v11, v9, 12, v4
	s_delay_alu instid0(VALU_DEP_3) | instskip(SKIP_3) | instid1(VALU_DEP_2)
	v_or_b32_e32 v8, v12, v8
	s_wait_alu 0xfffd
	v_cndmask_b32_e64 v6, 0, 1, vcc_lo
	v_cmp_gt_i32_e32 vcc_lo, 1, v7
	v_or_b32_e32 v6, v13, v6
	s_wait_alu 0xfffd
	v_cndmask_b32_e32 v8, v10, v8, vcc_lo
	v_cmp_gt_i32_e32 vcc_lo, 1, v9
	s_delay_alu instid0(VALU_DEP_2)
	v_and_b32_e32 v10, 7, v8
	s_wait_alu 0xfffd
	v_cndmask_b32_e32 v6, v11, v6, vcc_lo
	v_cmp_ne_u32_e32 vcc_lo, 0, v2
	v_lshrrev_b32_e32 v8, 2, v8
	v_cmp_eq_u32_e64 s0, 3, v10
	s_delay_alu instid0(VALU_DEP_4)
	v_and_b32_e32 v11, 7, v6
	s_wait_alu 0xfffd
	v_cndmask_b32_e64 v2, 0, 1, vcc_lo
	v_cmp_ne_u32_e32 vcc_lo, 0, v4
	v_lshrrev_b32_e32 v6, 2, v6
	v_cmp_lt_i32_e64 s1, 5, v11
	v_cmp_eq_u32_e64 s2, 3, v11
	s_wait_alu 0xfffd
	v_cndmask_b32_e64 v4, 0, 1, vcc_lo
	v_cmp_lt_i32_e32 vcc_lo, 5, v10
	v_lshl_or_b32 v2, v2, 9, 0x7c00
	s_delay_alu instid0(VALU_DEP_3)
	v_lshl_or_b32 v4, v4, 9, 0x7c00
	s_or_b32 vcc_lo, s0, vcc_lo
	s_wait_alu 0xfffe
	v_add_co_ci_u32_e32 v8, vcc_lo, 0, v8, vcc_lo
	s_or_b32 vcc_lo, s2, s1
	s_wait_alu 0xfffe
	v_add_co_ci_u32_e32 v6, vcc_lo, 0, v6, vcc_lo
	v_cmp_gt_i32_e32 vcc_lo, 31, v7
	s_wait_alu 0xfffd
	v_cndmask_b32_e32 v8, 0x7c00, v8, vcc_lo
	v_cmp_gt_i32_e32 vcc_lo, 31, v9
	s_wait_alu 0xfffd
	v_cndmask_b32_e32 v6, 0x7c00, v6, vcc_lo
	v_cmp_eq_u32_e32 vcc_lo, 0x40f, v7
	s_wait_alu 0xfffd
	v_cndmask_b32_e32 v2, v8, v2, vcc_lo
	v_cmp_eq_u32_e32 vcc_lo, 0x40f, v9
	v_add_nc_u32_e32 v8, 0x400, v29
	s_delay_alu instid0(VALU_DEP_3)
	v_and_or_b32 v2, 0x8000, v3, v2
	s_wait_alu 0xfffd
	v_cndmask_b32_e32 v4, v6, v4, vcc_lo
	v_add_co_u32 v0, vcc_lo, v0, s4
	s_wait_alu 0xfffd
	v_add_co_ci_u32_e32 v1, vcc_lo, s5, v1, vcc_lo
	s_delay_alu instid0(VALU_DEP_3) | instskip(SKIP_1) | instid1(VALU_DEP_1)
	v_and_or_b32 v3, 0x8000, v5, v4
	v_and_b32_e32 v2, 0xffff, v2
	v_lshl_or_b32 v2, v3, 16, v2
	global_store_b32 v[0:1], v2, off
	global_load_b32 v4, v29, s[8:9] offset:1372
	ds_load_2addr_b32 v[2:3], v8 offset0:87 offset1:136
	s_wait_dscnt 0x0
	v_lshrrev_b32_e32 v5, 16, v2
	s_wait_loadcnt 0x0
	v_lshrrev_b32_e32 v6, 16, v4
	s_delay_alu instid0(VALU_DEP_1) | instskip(SKIP_1) | instid1(VALU_DEP_2)
	v_mul_f16_e32 v7, v5, v6
	v_mul_f16_e32 v6, v2, v6
	v_fmac_f16_e32 v7, v2, v4
	s_delay_alu instid0(VALU_DEP_2) | instskip(NEXT) | instid1(VALU_DEP_2)
	v_fma_f16 v2, v4, v5, -v6
	v_cvt_f32_f16_e32 v4, v7
	s_delay_alu instid0(VALU_DEP_2) | instskip(NEXT) | instid1(VALU_DEP_2)
	v_cvt_f32_f16_e32 v2, v2
	v_cvt_f64_f32_e32 v[4:5], v4
	s_delay_alu instid0(VALU_DEP_2) | instskip(NEXT) | instid1(VALU_DEP_2)
	v_cvt_f64_f32_e32 v[6:7], v2
	v_mul_f64_e32 v[4:5], s[10:11], v[4:5]
	s_delay_alu instid0(VALU_DEP_2) | instskip(NEXT) | instid1(VALU_DEP_2)
	v_mul_f64_e32 v[6:7], s[10:11], v[6:7]
	v_and_or_b32 v2, 0x1ff, v5, v4
	s_delay_alu instid0(VALU_DEP_2)
	v_and_or_b32 v6, 0x1ff, v7, v6
	v_lshrrev_b32_e32 v4, 8, v5
	v_bfe_u32 v9, v5, 20, 11
	v_lshrrev_b32_e32 v10, 8, v7
	v_cmp_ne_u32_e32 vcc_lo, 0, v2
	v_bfe_u32 v11, v7, 20, 11
	v_lshrrev_b32_e32 v5, 16, v5
	v_sub_nc_u32_e32 v12, 0x3f1, v9
	v_add_nc_u32_e32 v9, 0xfffffc10, v9
	s_wait_alu 0xfffd
	v_cndmask_b32_e64 v2, 0, 1, vcc_lo
	v_cmp_ne_u32_e32 vcc_lo, 0, v6
	v_lshrrev_b32_e32 v7, 16, v7
	s_delay_alu instid0(VALU_DEP_3) | instskip(SKIP_4) | instid1(VALU_DEP_3)
	v_and_or_b32 v2, 0xffe, v4, v2
	s_wait_alu 0xfffd
	v_cndmask_b32_e64 v6, 0, 1, vcc_lo
	v_sub_nc_u32_e32 v4, 0x3f1, v11
	v_add_nc_u32_e32 v11, 0xfffffc10, v11
	v_and_or_b32 v6, 0xffe, v10, v6
	v_med3_i32 v10, v12, 0, 13
	v_or_b32_e32 v12, 0x1000, v2
	v_med3_i32 v4, v4, 0, 13
	s_delay_alu instid0(VALU_DEP_4) | instskip(NEXT) | instid1(VALU_DEP_3)
	v_or_b32_e32 v13, 0x1000, v6
	v_lshrrev_b32_e32 v14, v10, v12
	s_delay_alu instid0(VALU_DEP_2) | instskip(NEXT) | instid1(VALU_DEP_2)
	v_lshrrev_b32_e32 v15, v4, v13
	v_lshlrev_b32_e32 v10, v10, v14
	s_delay_alu instid0(VALU_DEP_2) | instskip(NEXT) | instid1(VALU_DEP_2)
	v_lshlrev_b32_e32 v4, v4, v15
	v_cmp_ne_u32_e32 vcc_lo, v10, v12
	v_lshl_or_b32 v12, v9, 12, v2
	s_wait_alu 0xfffd
	v_cndmask_b32_e64 v10, 0, 1, vcc_lo
	v_cmp_ne_u32_e32 vcc_lo, v4, v13
	v_lshl_or_b32 v13, v11, 12, v6
	s_delay_alu instid0(VALU_DEP_3) | instskip(SKIP_3) | instid1(VALU_DEP_2)
	v_or_b32_e32 v10, v14, v10
	s_wait_alu 0xfffd
	v_cndmask_b32_e64 v4, 0, 1, vcc_lo
	v_cmp_gt_i32_e32 vcc_lo, 1, v9
	v_or_b32_e32 v4, v15, v4
	s_wait_alu 0xfffd
	v_cndmask_b32_e32 v10, v12, v10, vcc_lo
	v_cmp_gt_i32_e32 vcc_lo, 1, v11
	s_delay_alu instid0(VALU_DEP_2)
	v_and_b32_e32 v12, 7, v10
	s_wait_alu 0xfffd
	v_cndmask_b32_e32 v4, v13, v4, vcc_lo
	v_cmp_ne_u32_e32 vcc_lo, 0, v2
	v_lshrrev_b32_e32 v10, 2, v10
	v_cmp_eq_u32_e64 s0, 3, v12
	s_delay_alu instid0(VALU_DEP_4)
	v_and_b32_e32 v13, 7, v4
	s_wait_alu 0xfffd
	v_cndmask_b32_e64 v2, 0, 1, vcc_lo
	v_cmp_ne_u32_e32 vcc_lo, 0, v6
	v_lshrrev_b32_e32 v4, 2, v4
	v_cmp_lt_i32_e64 s1, 5, v13
	v_cmp_eq_u32_e64 s2, 3, v13
	s_wait_alu 0xfffd
	v_cndmask_b32_e64 v6, 0, 1, vcc_lo
	v_cmp_lt_i32_e32 vcc_lo, 5, v12
	v_lshl_or_b32 v2, v2, 9, 0x7c00
	s_delay_alu instid0(VALU_DEP_3)
	v_lshl_or_b32 v6, v6, 9, 0x7c00
	s_or_b32 vcc_lo, s0, vcc_lo
	s_wait_alu 0xfffe
	v_add_co_ci_u32_e32 v10, vcc_lo, 0, v10, vcc_lo
	s_or_b32 vcc_lo, s2, s1
	s_wait_alu 0xfffe
	v_add_co_ci_u32_e32 v4, vcc_lo, 0, v4, vcc_lo
	v_cmp_gt_i32_e32 vcc_lo, 31, v9
	s_wait_alu 0xfffd
	v_cndmask_b32_e32 v10, 0x7c00, v10, vcc_lo
	v_cmp_gt_i32_e32 vcc_lo, 31, v11
	s_wait_alu 0xfffd
	v_cndmask_b32_e32 v4, 0x7c00, v4, vcc_lo
	v_cmp_eq_u32_e32 vcc_lo, 0x40f, v9
	s_wait_alu 0xfffd
	v_cndmask_b32_e32 v2, v10, v2, vcc_lo
	v_cmp_eq_u32_e32 vcc_lo, 0x40f, v11
	s_delay_alu instid0(VALU_DEP_2)
	v_and_or_b32 v2, 0x8000, v5, v2
	s_wait_alu 0xfffd
	v_cndmask_b32_e32 v4, v4, v6, vcc_lo
	v_add_co_u32 v0, vcc_lo, v0, s4
	s_wait_alu 0xfffd
	v_add_co_ci_u32_e32 v1, vcc_lo, s5, v1, vcc_lo
	s_delay_alu instid0(VALU_DEP_3) | instskip(SKIP_1) | instid1(VALU_DEP_1)
	v_and_or_b32 v4, 0x8000, v7, v4
	v_and_b32_e32 v2, 0xffff, v2
	v_lshl_or_b32 v2, v4, 16, v2
	v_lshrrev_b32_e32 v4, 16, v3
	global_store_b32 v[0:1], v2, off
	global_load_b32 v2, v29, s[8:9] offset:1568
	s_wait_loadcnt 0x0
	v_lshrrev_b32_e32 v5, 16, v2
	s_delay_alu instid0(VALU_DEP_1) | instskip(SKIP_1) | instid1(VALU_DEP_2)
	v_mul_f16_e32 v6, v4, v5
	v_mul_f16_e32 v5, v3, v5
	v_fmac_f16_e32 v6, v3, v2
	s_delay_alu instid0(VALU_DEP_2) | instskip(NEXT) | instid1(VALU_DEP_2)
	v_fma_f16 v2, v2, v4, -v5
	v_cvt_f32_f16_e32 v3, v6
	s_delay_alu instid0(VALU_DEP_2) | instskip(NEXT) | instid1(VALU_DEP_2)
	v_cvt_f32_f16_e32 v4, v2
	v_cvt_f64_f32_e32 v[2:3], v3
	s_delay_alu instid0(VALU_DEP_2) | instskip(NEXT) | instid1(VALU_DEP_2)
	v_cvt_f64_f32_e32 v[4:5], v4
	v_mul_f64_e32 v[2:3], s[10:11], v[2:3]
	s_delay_alu instid0(VALU_DEP_2) | instskip(NEXT) | instid1(VALU_DEP_2)
	v_mul_f64_e32 v[4:5], s[10:11], v[4:5]
	v_and_or_b32 v2, 0x1ff, v3, v2
	s_delay_alu instid0(VALU_DEP_2)
	v_and_or_b32 v4, 0x1ff, v5, v4
	v_lshrrev_b32_e32 v6, 8, v3
	v_bfe_u32 v7, v3, 20, 11
	v_lshrrev_b32_e32 v9, 8, v5
	v_cmp_ne_u32_e32 vcc_lo, 0, v2
	v_bfe_u32 v10, v5, 20, 11
	v_lshrrev_b32_e32 v3, 16, v3
	v_sub_nc_u32_e32 v11, 0x3f1, v7
	v_add_nc_u32_e32 v7, 0xfffffc10, v7
	s_wait_alu 0xfffd
	v_cndmask_b32_e64 v2, 0, 1, vcc_lo
	v_cmp_ne_u32_e32 vcc_lo, 0, v4
	v_lshrrev_b32_e32 v5, 16, v5
	s_delay_alu instid0(VALU_DEP_3) | instskip(SKIP_4) | instid1(VALU_DEP_3)
	v_and_or_b32 v2, 0xffe, v6, v2
	s_wait_alu 0xfffd
	v_cndmask_b32_e64 v4, 0, 1, vcc_lo
	v_sub_nc_u32_e32 v6, 0x3f1, v10
	v_add_nc_u32_e32 v10, 0xfffffc10, v10
	v_and_or_b32 v4, 0xffe, v9, v4
	v_med3_i32 v9, v11, 0, 13
	v_or_b32_e32 v11, 0x1000, v2
	v_med3_i32 v6, v6, 0, 13
	s_delay_alu instid0(VALU_DEP_4) | instskip(NEXT) | instid1(VALU_DEP_3)
	v_or_b32_e32 v12, 0x1000, v4
	v_lshrrev_b32_e32 v13, v9, v11
	s_delay_alu instid0(VALU_DEP_2) | instskip(NEXT) | instid1(VALU_DEP_2)
	v_lshrrev_b32_e32 v14, v6, v12
	v_lshlrev_b32_e32 v9, v9, v13
	s_delay_alu instid0(VALU_DEP_2) | instskip(NEXT) | instid1(VALU_DEP_2)
	v_lshlrev_b32_e32 v6, v6, v14
	v_cmp_ne_u32_e32 vcc_lo, v9, v11
	v_lshl_or_b32 v11, v7, 12, v2
	s_wait_alu 0xfffd
	v_cndmask_b32_e64 v9, 0, 1, vcc_lo
	v_cmp_ne_u32_e32 vcc_lo, v6, v12
	v_lshl_or_b32 v12, v10, 12, v4
	s_delay_alu instid0(VALU_DEP_3) | instskip(SKIP_3) | instid1(VALU_DEP_2)
	v_or_b32_e32 v9, v13, v9
	s_wait_alu 0xfffd
	v_cndmask_b32_e64 v6, 0, 1, vcc_lo
	v_cmp_gt_i32_e32 vcc_lo, 1, v7
	v_or_b32_e32 v6, v14, v6
	s_wait_alu 0xfffd
	v_cndmask_b32_e32 v9, v11, v9, vcc_lo
	v_cmp_gt_i32_e32 vcc_lo, 1, v10
	s_wait_alu 0xfffd
	s_delay_alu instid0(VALU_DEP_2) | instskip(SKIP_2) | instid1(VALU_DEP_3)
	v_dual_cndmask_b32 v6, v12, v6 :: v_dual_and_b32 v11, 7, v9
	v_cmp_ne_u32_e32 vcc_lo, 0, v2
	v_lshrrev_b32_e32 v9, 2, v9
	v_cmp_eq_u32_e64 s0, 3, v11
	s_delay_alu instid0(VALU_DEP_4)
	v_and_b32_e32 v12, 7, v6
	s_wait_alu 0xfffd
	v_cndmask_b32_e64 v2, 0, 1, vcc_lo
	v_cmp_ne_u32_e32 vcc_lo, 0, v4
	v_lshrrev_b32_e32 v6, 2, v6
	v_cmp_lt_i32_e64 s1, 5, v12
	v_cmp_eq_u32_e64 s2, 3, v12
	s_wait_alu 0xfffd
	v_cndmask_b32_e64 v4, 0, 1, vcc_lo
	v_cmp_lt_i32_e32 vcc_lo, 5, v11
	v_lshl_or_b32 v2, v2, 9, 0x7c00
	s_delay_alu instid0(VALU_DEP_3)
	v_lshl_or_b32 v4, v4, 9, 0x7c00
	s_or_b32 vcc_lo, s0, vcc_lo
	s_wait_alu 0xfffe
	v_add_co_ci_u32_e32 v9, vcc_lo, 0, v9, vcc_lo
	s_or_b32 vcc_lo, s2, s1
	s_wait_alu 0xfffe
	v_add_co_ci_u32_e32 v6, vcc_lo, 0, v6, vcc_lo
	v_cmp_gt_i32_e32 vcc_lo, 31, v7
	s_wait_alu 0xfffd
	v_cndmask_b32_e32 v9, 0x7c00, v9, vcc_lo
	v_cmp_gt_i32_e32 vcc_lo, 31, v10
	s_wait_alu 0xfffd
	v_cndmask_b32_e32 v6, 0x7c00, v6, vcc_lo
	v_cmp_eq_u32_e32 vcc_lo, 0x40f, v7
	s_wait_alu 0xfffd
	v_cndmask_b32_e32 v2, v9, v2, vcc_lo
	v_cmp_eq_u32_e32 vcc_lo, 0x40f, v10
	s_delay_alu instid0(VALU_DEP_2)
	v_and_or_b32 v2, 0x8000, v3, v2
	s_wait_alu 0xfffd
	v_cndmask_b32_e32 v4, v6, v4, vcc_lo
	v_add_co_u32 v0, vcc_lo, v0, s4
	s_wait_alu 0xfffd
	v_add_co_ci_u32_e32 v1, vcc_lo, s5, v1, vcc_lo
	s_delay_alu instid0(VALU_DEP_3) | instskip(SKIP_1) | instid1(VALU_DEP_1)
	v_and_or_b32 v3, 0x8000, v5, v4
	v_and_b32_e32 v2, 0xffff, v2
	v_lshl_or_b32 v2, v3, 16, v2
	global_store_b32 v[0:1], v2, off
	global_load_b32 v4, v29, s[8:9] offset:1764
	ds_load_2addr_b32 v[2:3], v8 offset0:185 offset1:234
	s_wait_dscnt 0x0
	v_lshrrev_b32_e32 v5, 16, v2
	s_wait_loadcnt 0x0
	v_lshrrev_b32_e32 v6, 16, v4
	s_delay_alu instid0(VALU_DEP_1) | instskip(SKIP_1) | instid1(VALU_DEP_2)
	v_mul_f16_e32 v7, v5, v6
	v_mul_f16_e32 v6, v2, v6
	v_fmac_f16_e32 v7, v2, v4
	s_delay_alu instid0(VALU_DEP_2) | instskip(NEXT) | instid1(VALU_DEP_2)
	v_fma_f16 v2, v4, v5, -v6
	v_cvt_f32_f16_e32 v4, v7
	s_delay_alu instid0(VALU_DEP_2) | instskip(NEXT) | instid1(VALU_DEP_2)
	v_cvt_f32_f16_e32 v2, v2
	v_cvt_f64_f32_e32 v[4:5], v4
	s_delay_alu instid0(VALU_DEP_2) | instskip(NEXT) | instid1(VALU_DEP_2)
	v_cvt_f64_f32_e32 v[6:7], v2
	v_mul_f64_e32 v[4:5], s[10:11], v[4:5]
	s_delay_alu instid0(VALU_DEP_2) | instskip(NEXT) | instid1(VALU_DEP_2)
	v_mul_f64_e32 v[6:7], s[10:11], v[6:7]
	v_and_or_b32 v2, 0x1ff, v5, v4
	s_delay_alu instid0(VALU_DEP_2)
	v_and_or_b32 v6, 0x1ff, v7, v6
	v_lshrrev_b32_e32 v4, 8, v5
	v_bfe_u32 v8, v5, 20, 11
	v_lshrrev_b32_e32 v9, 8, v7
	v_cmp_ne_u32_e32 vcc_lo, 0, v2
	v_bfe_u32 v10, v7, 20, 11
	v_lshrrev_b32_e32 v5, 16, v5
	v_sub_nc_u32_e32 v11, 0x3f1, v8
	v_add_nc_u32_e32 v8, 0xfffffc10, v8
	s_wait_alu 0xfffd
	v_cndmask_b32_e64 v2, 0, 1, vcc_lo
	v_cmp_ne_u32_e32 vcc_lo, 0, v6
	v_lshrrev_b32_e32 v7, 16, v7
	s_delay_alu instid0(VALU_DEP_3) | instskip(SKIP_4) | instid1(VALU_DEP_3)
	v_and_or_b32 v2, 0xffe, v4, v2
	s_wait_alu 0xfffd
	v_cndmask_b32_e64 v6, 0, 1, vcc_lo
	v_sub_nc_u32_e32 v4, 0x3f1, v10
	v_add_nc_u32_e32 v10, 0xfffffc10, v10
	v_and_or_b32 v6, 0xffe, v9, v6
	v_med3_i32 v9, v11, 0, 13
	v_or_b32_e32 v11, 0x1000, v2
	v_med3_i32 v4, v4, 0, 13
	s_delay_alu instid0(VALU_DEP_4) | instskip(NEXT) | instid1(VALU_DEP_3)
	v_or_b32_e32 v12, 0x1000, v6
	v_lshrrev_b32_e32 v13, v9, v11
	s_delay_alu instid0(VALU_DEP_2) | instskip(NEXT) | instid1(VALU_DEP_2)
	v_lshrrev_b32_e32 v14, v4, v12
	v_lshlrev_b32_e32 v9, v9, v13
	s_delay_alu instid0(VALU_DEP_2) | instskip(NEXT) | instid1(VALU_DEP_2)
	v_lshlrev_b32_e32 v4, v4, v14
	v_cmp_ne_u32_e32 vcc_lo, v9, v11
	v_lshl_or_b32 v11, v8, 12, v2
	s_wait_alu 0xfffd
	v_cndmask_b32_e64 v9, 0, 1, vcc_lo
	v_cmp_ne_u32_e32 vcc_lo, v4, v12
	v_lshl_or_b32 v12, v10, 12, v6
	s_delay_alu instid0(VALU_DEP_3) | instskip(SKIP_3) | instid1(VALU_DEP_2)
	v_or_b32_e32 v9, v13, v9
	s_wait_alu 0xfffd
	v_cndmask_b32_e64 v4, 0, 1, vcc_lo
	v_cmp_gt_i32_e32 vcc_lo, 1, v8
	v_or_b32_e32 v4, v14, v4
	s_wait_alu 0xfffd
	v_cndmask_b32_e32 v9, v11, v9, vcc_lo
	v_cmp_gt_i32_e32 vcc_lo, 1, v10
	s_wait_alu 0xfffd
	s_delay_alu instid0(VALU_DEP_2) | instskip(SKIP_2) | instid1(VALU_DEP_3)
	v_dual_cndmask_b32 v4, v12, v4 :: v_dual_and_b32 v11, 7, v9
	v_cmp_ne_u32_e32 vcc_lo, 0, v2
	v_lshrrev_b32_e32 v9, 2, v9
	v_cmp_eq_u32_e64 s0, 3, v11
	s_delay_alu instid0(VALU_DEP_4)
	v_and_b32_e32 v12, 7, v4
	s_wait_alu 0xfffd
	v_cndmask_b32_e64 v2, 0, 1, vcc_lo
	v_cmp_ne_u32_e32 vcc_lo, 0, v6
	v_lshrrev_b32_e32 v4, 2, v4
	v_cmp_lt_i32_e64 s1, 5, v12
	v_cmp_eq_u32_e64 s2, 3, v12
	s_wait_alu 0xfffd
	v_cndmask_b32_e64 v6, 0, 1, vcc_lo
	v_cmp_lt_i32_e32 vcc_lo, 5, v11
	v_lshl_or_b32 v2, v2, 9, 0x7c00
	s_delay_alu instid0(VALU_DEP_3)
	v_lshl_or_b32 v6, v6, 9, 0x7c00
	s_or_b32 vcc_lo, s0, vcc_lo
	s_wait_alu 0xfffe
	v_add_co_ci_u32_e32 v9, vcc_lo, 0, v9, vcc_lo
	s_or_b32 vcc_lo, s2, s1
	s_wait_alu 0xfffe
	v_add_co_ci_u32_e32 v4, vcc_lo, 0, v4, vcc_lo
	v_cmp_gt_i32_e32 vcc_lo, 31, v8
	s_wait_alu 0xfffd
	v_cndmask_b32_e32 v9, 0x7c00, v9, vcc_lo
	v_cmp_gt_i32_e32 vcc_lo, 31, v10
	s_wait_alu 0xfffd
	v_cndmask_b32_e32 v4, 0x7c00, v4, vcc_lo
	v_cmp_eq_u32_e32 vcc_lo, 0x40f, v8
	s_wait_alu 0xfffd
	v_cndmask_b32_e32 v2, v9, v2, vcc_lo
	v_cmp_eq_u32_e32 vcc_lo, 0x40f, v10
	s_delay_alu instid0(VALU_DEP_2)
	v_and_or_b32 v2, 0x8000, v5, v2
	s_wait_alu 0xfffd
	v_cndmask_b32_e32 v4, v4, v6, vcc_lo
	v_add_co_u32 v0, vcc_lo, v0, s4
	s_wait_alu 0xfffd
	v_add_co_ci_u32_e32 v1, vcc_lo, s5, v1, vcc_lo
	s_delay_alu instid0(VALU_DEP_3) | instskip(SKIP_1) | instid1(VALU_DEP_1)
	v_and_or_b32 v4, 0x8000, v7, v4
	v_and_b32_e32 v2, 0xffff, v2
	v_lshl_or_b32 v2, v4, 16, v2
	v_lshrrev_b32_e32 v4, 16, v3
	global_store_b32 v[0:1], v2, off
	global_load_b32 v2, v29, s[8:9] offset:1960
	s_wait_loadcnt 0x0
	v_lshrrev_b32_e32 v5, 16, v2
	s_delay_alu instid0(VALU_DEP_1) | instskip(SKIP_1) | instid1(VALU_DEP_2)
	v_mul_f16_e32 v6, v4, v5
	v_mul_f16_e32 v5, v3, v5
	v_fmac_f16_e32 v6, v3, v2
	s_delay_alu instid0(VALU_DEP_2) | instskip(NEXT) | instid1(VALU_DEP_2)
	v_fma_f16 v2, v2, v4, -v5
	v_cvt_f32_f16_e32 v3, v6
	s_delay_alu instid0(VALU_DEP_2) | instskip(NEXT) | instid1(VALU_DEP_2)
	v_cvt_f32_f16_e32 v4, v2
	v_cvt_f64_f32_e32 v[2:3], v3
	s_delay_alu instid0(VALU_DEP_2) | instskip(NEXT) | instid1(VALU_DEP_2)
	v_cvt_f64_f32_e32 v[4:5], v4
	v_mul_f64_e32 v[2:3], s[10:11], v[2:3]
	s_delay_alu instid0(VALU_DEP_2) | instskip(NEXT) | instid1(VALU_DEP_2)
	v_mul_f64_e32 v[4:5], s[10:11], v[4:5]
	v_and_or_b32 v2, 0x1ff, v3, v2
	s_delay_alu instid0(VALU_DEP_2)
	v_and_or_b32 v4, 0x1ff, v5, v4
	v_lshrrev_b32_e32 v6, 8, v3
	v_bfe_u32 v7, v3, 20, 11
	v_lshrrev_b32_e32 v8, 8, v5
	v_cmp_ne_u32_e32 vcc_lo, 0, v2
	v_bfe_u32 v9, v5, 20, 11
	v_lshrrev_b32_e32 v3, 16, v3
	v_sub_nc_u32_e32 v10, 0x3f1, v7
	v_add_nc_u32_e32 v7, 0xfffffc10, v7
	s_wait_alu 0xfffd
	v_cndmask_b32_e64 v2, 0, 1, vcc_lo
	v_cmp_ne_u32_e32 vcc_lo, 0, v4
	v_lshrrev_b32_e32 v5, 16, v5
	s_delay_alu instid0(VALU_DEP_3) | instskip(SKIP_4) | instid1(VALU_DEP_3)
	v_and_or_b32 v2, 0xffe, v6, v2
	s_wait_alu 0xfffd
	v_cndmask_b32_e64 v4, 0, 1, vcc_lo
	v_sub_nc_u32_e32 v6, 0x3f1, v9
	v_add_nc_u32_e32 v9, 0xfffffc10, v9
	v_and_or_b32 v4, 0xffe, v8, v4
	v_med3_i32 v8, v10, 0, 13
	v_or_b32_e32 v10, 0x1000, v2
	v_med3_i32 v6, v6, 0, 13
	s_delay_alu instid0(VALU_DEP_4) | instskip(NEXT) | instid1(VALU_DEP_3)
	v_or_b32_e32 v11, 0x1000, v4
	v_lshrrev_b32_e32 v12, v8, v10
	s_delay_alu instid0(VALU_DEP_2) | instskip(NEXT) | instid1(VALU_DEP_2)
	v_lshrrev_b32_e32 v13, v6, v11
	v_lshlrev_b32_e32 v8, v8, v12
	s_delay_alu instid0(VALU_DEP_2) | instskip(NEXT) | instid1(VALU_DEP_2)
	v_lshlrev_b32_e32 v6, v6, v13
	v_cmp_ne_u32_e32 vcc_lo, v8, v10
	v_lshl_or_b32 v10, v7, 12, v2
	s_wait_alu 0xfffd
	v_cndmask_b32_e64 v8, 0, 1, vcc_lo
	v_cmp_ne_u32_e32 vcc_lo, v6, v11
	v_lshl_or_b32 v11, v9, 12, v4
	s_delay_alu instid0(VALU_DEP_3) | instskip(SKIP_3) | instid1(VALU_DEP_2)
	v_or_b32_e32 v8, v12, v8
	s_wait_alu 0xfffd
	v_cndmask_b32_e64 v6, 0, 1, vcc_lo
	v_cmp_gt_i32_e32 vcc_lo, 1, v7
	v_or_b32_e32 v6, v13, v6
	s_wait_alu 0xfffd
	v_cndmask_b32_e32 v8, v10, v8, vcc_lo
	v_cmp_gt_i32_e32 vcc_lo, 1, v9
	s_delay_alu instid0(VALU_DEP_2)
	v_and_b32_e32 v10, 7, v8
	s_wait_alu 0xfffd
	v_cndmask_b32_e32 v6, v11, v6, vcc_lo
	v_cmp_ne_u32_e32 vcc_lo, 0, v2
	v_lshrrev_b32_e32 v8, 2, v8
	v_cmp_eq_u32_e64 s0, 3, v10
	s_delay_alu instid0(VALU_DEP_4)
	v_and_b32_e32 v11, 7, v6
	s_wait_alu 0xfffd
	v_cndmask_b32_e64 v2, 0, 1, vcc_lo
	v_cmp_ne_u32_e32 vcc_lo, 0, v4
	v_lshrrev_b32_e32 v6, 2, v6
	v_cmp_lt_i32_e64 s1, 5, v11
	v_cmp_eq_u32_e64 s2, 3, v11
	s_wait_alu 0xfffd
	v_cndmask_b32_e64 v4, 0, 1, vcc_lo
	v_cmp_lt_i32_e32 vcc_lo, 5, v10
	v_lshl_or_b32 v2, v2, 9, 0x7c00
	s_delay_alu instid0(VALU_DEP_3)
	v_lshl_or_b32 v4, v4, 9, 0x7c00
	s_or_b32 vcc_lo, s0, vcc_lo
	s_wait_alu 0xfffe
	v_add_co_ci_u32_e32 v8, vcc_lo, 0, v8, vcc_lo
	s_or_b32 vcc_lo, s2, s1
	s_wait_alu 0xfffe
	v_add_co_ci_u32_e32 v6, vcc_lo, 0, v6, vcc_lo
	v_cmp_gt_i32_e32 vcc_lo, 31, v7
	s_wait_alu 0xfffd
	v_cndmask_b32_e32 v8, 0x7c00, v8, vcc_lo
	v_cmp_gt_i32_e32 vcc_lo, 31, v9
	s_wait_alu 0xfffd
	v_cndmask_b32_e32 v6, 0x7c00, v6, vcc_lo
	v_cmp_eq_u32_e32 vcc_lo, 0x40f, v7
	s_wait_alu 0xfffd
	v_cndmask_b32_e32 v2, v8, v2, vcc_lo
	v_cmp_eq_u32_e32 vcc_lo, 0x40f, v9
	v_add_nc_u32_e32 v8, 0x800, v29
	s_delay_alu instid0(VALU_DEP_3)
	v_and_or_b32 v2, 0x8000, v3, v2
	s_wait_alu 0xfffd
	v_cndmask_b32_e32 v4, v6, v4, vcc_lo
	v_add_co_u32 v0, vcc_lo, v0, s4
	s_wait_alu 0xfffd
	v_add_co_ci_u32_e32 v1, vcc_lo, s5, v1, vcc_lo
	s_delay_alu instid0(VALU_DEP_3) | instskip(SKIP_1) | instid1(VALU_DEP_1)
	v_and_or_b32 v3, 0x8000, v5, v4
	v_and_b32_e32 v2, 0xffff, v2
	v_lshl_or_b32 v2, v3, 16, v2
	global_store_b32 v[0:1], v2, off
	global_load_b32 v4, v29, s[8:9] offset:2156
	ds_load_2addr_b32 v[2:3], v8 offset0:27 offset1:76
	s_wait_dscnt 0x0
	v_lshrrev_b32_e32 v5, 16, v2
	s_wait_loadcnt 0x0
	v_lshrrev_b32_e32 v6, 16, v4
	s_delay_alu instid0(VALU_DEP_1) | instskip(SKIP_1) | instid1(VALU_DEP_2)
	v_mul_f16_e32 v7, v5, v6
	v_mul_f16_e32 v6, v2, v6
	v_fmac_f16_e32 v7, v2, v4
	s_delay_alu instid0(VALU_DEP_2) | instskip(NEXT) | instid1(VALU_DEP_2)
	v_fma_f16 v2, v4, v5, -v6
	v_cvt_f32_f16_e32 v4, v7
	s_delay_alu instid0(VALU_DEP_2) | instskip(NEXT) | instid1(VALU_DEP_2)
	v_cvt_f32_f16_e32 v2, v2
	v_cvt_f64_f32_e32 v[4:5], v4
	s_delay_alu instid0(VALU_DEP_2) | instskip(NEXT) | instid1(VALU_DEP_2)
	v_cvt_f64_f32_e32 v[6:7], v2
	v_mul_f64_e32 v[4:5], s[10:11], v[4:5]
	s_delay_alu instid0(VALU_DEP_2) | instskip(NEXT) | instid1(VALU_DEP_2)
	v_mul_f64_e32 v[6:7], s[10:11], v[6:7]
	v_and_or_b32 v2, 0x1ff, v5, v4
	s_delay_alu instid0(VALU_DEP_2)
	v_and_or_b32 v6, 0x1ff, v7, v6
	v_lshrrev_b32_e32 v4, 8, v5
	v_bfe_u32 v9, v5, 20, 11
	v_lshrrev_b32_e32 v10, 8, v7
	v_cmp_ne_u32_e32 vcc_lo, 0, v2
	v_bfe_u32 v11, v7, 20, 11
	v_lshrrev_b32_e32 v5, 16, v5
	v_sub_nc_u32_e32 v12, 0x3f1, v9
	v_add_nc_u32_e32 v9, 0xfffffc10, v9
	s_wait_alu 0xfffd
	v_cndmask_b32_e64 v2, 0, 1, vcc_lo
	v_cmp_ne_u32_e32 vcc_lo, 0, v6
	v_lshrrev_b32_e32 v7, 16, v7
	s_delay_alu instid0(VALU_DEP_3) | instskip(SKIP_4) | instid1(VALU_DEP_3)
	v_and_or_b32 v2, 0xffe, v4, v2
	s_wait_alu 0xfffd
	v_cndmask_b32_e64 v6, 0, 1, vcc_lo
	v_sub_nc_u32_e32 v4, 0x3f1, v11
	v_add_nc_u32_e32 v11, 0xfffffc10, v11
	v_and_or_b32 v6, 0xffe, v10, v6
	v_med3_i32 v10, v12, 0, 13
	v_or_b32_e32 v12, 0x1000, v2
	v_med3_i32 v4, v4, 0, 13
	s_delay_alu instid0(VALU_DEP_4) | instskip(NEXT) | instid1(VALU_DEP_3)
	v_or_b32_e32 v13, 0x1000, v6
	v_lshrrev_b32_e32 v14, v10, v12
	s_delay_alu instid0(VALU_DEP_2) | instskip(NEXT) | instid1(VALU_DEP_2)
	v_lshrrev_b32_e32 v15, v4, v13
	v_lshlrev_b32_e32 v10, v10, v14
	s_delay_alu instid0(VALU_DEP_2) | instskip(NEXT) | instid1(VALU_DEP_2)
	v_lshlrev_b32_e32 v4, v4, v15
	v_cmp_ne_u32_e32 vcc_lo, v10, v12
	v_lshl_or_b32 v12, v9, 12, v2
	s_wait_alu 0xfffd
	v_cndmask_b32_e64 v10, 0, 1, vcc_lo
	v_cmp_ne_u32_e32 vcc_lo, v4, v13
	v_lshl_or_b32 v13, v11, 12, v6
	s_delay_alu instid0(VALU_DEP_3) | instskip(SKIP_3) | instid1(VALU_DEP_2)
	v_or_b32_e32 v10, v14, v10
	s_wait_alu 0xfffd
	v_cndmask_b32_e64 v4, 0, 1, vcc_lo
	v_cmp_gt_i32_e32 vcc_lo, 1, v9
	v_or_b32_e32 v4, v15, v4
	s_wait_alu 0xfffd
	v_cndmask_b32_e32 v10, v12, v10, vcc_lo
	v_cmp_gt_i32_e32 vcc_lo, 1, v11
	s_delay_alu instid0(VALU_DEP_2)
	v_and_b32_e32 v12, 7, v10
	s_wait_alu 0xfffd
	v_cndmask_b32_e32 v4, v13, v4, vcc_lo
	v_cmp_ne_u32_e32 vcc_lo, 0, v2
	v_lshrrev_b32_e32 v10, 2, v10
	v_cmp_eq_u32_e64 s0, 3, v12
	s_delay_alu instid0(VALU_DEP_4)
	v_and_b32_e32 v13, 7, v4
	s_wait_alu 0xfffd
	v_cndmask_b32_e64 v2, 0, 1, vcc_lo
	v_cmp_ne_u32_e32 vcc_lo, 0, v6
	v_lshrrev_b32_e32 v4, 2, v4
	v_cmp_lt_i32_e64 s1, 5, v13
	v_cmp_eq_u32_e64 s2, 3, v13
	s_wait_alu 0xfffd
	v_cndmask_b32_e64 v6, 0, 1, vcc_lo
	v_cmp_lt_i32_e32 vcc_lo, 5, v12
	v_lshl_or_b32 v2, v2, 9, 0x7c00
	s_delay_alu instid0(VALU_DEP_3)
	v_lshl_or_b32 v6, v6, 9, 0x7c00
	s_or_b32 vcc_lo, s0, vcc_lo
	s_wait_alu 0xfffe
	v_add_co_ci_u32_e32 v10, vcc_lo, 0, v10, vcc_lo
	s_or_b32 vcc_lo, s2, s1
	s_wait_alu 0xfffe
	v_add_co_ci_u32_e32 v4, vcc_lo, 0, v4, vcc_lo
	v_cmp_gt_i32_e32 vcc_lo, 31, v9
	s_wait_alu 0xfffd
	v_cndmask_b32_e32 v10, 0x7c00, v10, vcc_lo
	v_cmp_gt_i32_e32 vcc_lo, 31, v11
	s_wait_alu 0xfffd
	v_cndmask_b32_e32 v4, 0x7c00, v4, vcc_lo
	v_cmp_eq_u32_e32 vcc_lo, 0x40f, v9
	s_wait_alu 0xfffd
	v_cndmask_b32_e32 v2, v10, v2, vcc_lo
	v_cmp_eq_u32_e32 vcc_lo, 0x40f, v11
	s_delay_alu instid0(VALU_DEP_2)
	v_and_or_b32 v2, 0x8000, v5, v2
	s_wait_alu 0xfffd
	v_cndmask_b32_e32 v4, v4, v6, vcc_lo
	v_add_co_u32 v0, vcc_lo, v0, s4
	s_wait_alu 0xfffd
	v_add_co_ci_u32_e32 v1, vcc_lo, s5, v1, vcc_lo
	s_delay_alu instid0(VALU_DEP_3) | instskip(SKIP_1) | instid1(VALU_DEP_1)
	v_and_or_b32 v4, 0x8000, v7, v4
	v_and_b32_e32 v2, 0xffff, v2
	v_lshl_or_b32 v2, v4, 16, v2
	v_lshrrev_b32_e32 v4, 16, v3
	global_store_b32 v[0:1], v2, off
	global_load_b32 v2, v29, s[8:9] offset:2352
	s_wait_loadcnt 0x0
	v_lshrrev_b32_e32 v5, 16, v2
	s_delay_alu instid0(VALU_DEP_1) | instskip(SKIP_1) | instid1(VALU_DEP_2)
	v_mul_f16_e32 v6, v4, v5
	v_mul_f16_e32 v5, v3, v5
	v_fmac_f16_e32 v6, v3, v2
	s_delay_alu instid0(VALU_DEP_2) | instskip(NEXT) | instid1(VALU_DEP_2)
	v_fma_f16 v2, v2, v4, -v5
	v_cvt_f32_f16_e32 v3, v6
	s_delay_alu instid0(VALU_DEP_2) | instskip(NEXT) | instid1(VALU_DEP_2)
	v_cvt_f32_f16_e32 v4, v2
	v_cvt_f64_f32_e32 v[2:3], v3
	s_delay_alu instid0(VALU_DEP_2) | instskip(NEXT) | instid1(VALU_DEP_2)
	v_cvt_f64_f32_e32 v[4:5], v4
	v_mul_f64_e32 v[2:3], s[10:11], v[2:3]
	s_delay_alu instid0(VALU_DEP_2) | instskip(NEXT) | instid1(VALU_DEP_2)
	v_mul_f64_e32 v[4:5], s[10:11], v[4:5]
	v_and_or_b32 v2, 0x1ff, v3, v2
	s_delay_alu instid0(VALU_DEP_2)
	v_and_or_b32 v4, 0x1ff, v5, v4
	v_lshrrev_b32_e32 v6, 8, v3
	v_bfe_u32 v7, v3, 20, 11
	v_lshrrev_b32_e32 v9, 8, v5
	v_cmp_ne_u32_e32 vcc_lo, 0, v2
	v_bfe_u32 v10, v5, 20, 11
	v_lshrrev_b32_e32 v3, 16, v3
	v_sub_nc_u32_e32 v11, 0x3f1, v7
	v_add_nc_u32_e32 v7, 0xfffffc10, v7
	s_wait_alu 0xfffd
	v_cndmask_b32_e64 v2, 0, 1, vcc_lo
	v_cmp_ne_u32_e32 vcc_lo, 0, v4
	v_lshrrev_b32_e32 v5, 16, v5
	s_delay_alu instid0(VALU_DEP_3) | instskip(SKIP_4) | instid1(VALU_DEP_3)
	v_and_or_b32 v2, 0xffe, v6, v2
	s_wait_alu 0xfffd
	v_cndmask_b32_e64 v4, 0, 1, vcc_lo
	v_sub_nc_u32_e32 v6, 0x3f1, v10
	v_add_nc_u32_e32 v10, 0xfffffc10, v10
	v_and_or_b32 v4, 0xffe, v9, v4
	v_med3_i32 v9, v11, 0, 13
	v_or_b32_e32 v11, 0x1000, v2
	v_med3_i32 v6, v6, 0, 13
	s_delay_alu instid0(VALU_DEP_4) | instskip(NEXT) | instid1(VALU_DEP_3)
	v_or_b32_e32 v12, 0x1000, v4
	v_lshrrev_b32_e32 v13, v9, v11
	s_delay_alu instid0(VALU_DEP_2) | instskip(NEXT) | instid1(VALU_DEP_2)
	v_lshrrev_b32_e32 v14, v6, v12
	v_lshlrev_b32_e32 v9, v9, v13
	s_delay_alu instid0(VALU_DEP_2) | instskip(NEXT) | instid1(VALU_DEP_2)
	v_lshlrev_b32_e32 v6, v6, v14
	v_cmp_ne_u32_e32 vcc_lo, v9, v11
	v_lshl_or_b32 v11, v7, 12, v2
	s_wait_alu 0xfffd
	v_cndmask_b32_e64 v9, 0, 1, vcc_lo
	v_cmp_ne_u32_e32 vcc_lo, v6, v12
	v_lshl_or_b32 v12, v10, 12, v4
	s_delay_alu instid0(VALU_DEP_3) | instskip(SKIP_3) | instid1(VALU_DEP_2)
	v_or_b32_e32 v9, v13, v9
	s_wait_alu 0xfffd
	v_cndmask_b32_e64 v6, 0, 1, vcc_lo
	v_cmp_gt_i32_e32 vcc_lo, 1, v7
	v_or_b32_e32 v6, v14, v6
	s_wait_alu 0xfffd
	v_cndmask_b32_e32 v9, v11, v9, vcc_lo
	v_cmp_gt_i32_e32 vcc_lo, 1, v10
	s_wait_alu 0xfffd
	s_delay_alu instid0(VALU_DEP_2) | instskip(SKIP_2) | instid1(VALU_DEP_3)
	v_dual_cndmask_b32 v6, v12, v6 :: v_dual_and_b32 v11, 7, v9
	v_cmp_ne_u32_e32 vcc_lo, 0, v2
	v_lshrrev_b32_e32 v9, 2, v9
	v_cmp_eq_u32_e64 s0, 3, v11
	s_delay_alu instid0(VALU_DEP_4)
	v_and_b32_e32 v12, 7, v6
	s_wait_alu 0xfffd
	v_cndmask_b32_e64 v2, 0, 1, vcc_lo
	v_cmp_ne_u32_e32 vcc_lo, 0, v4
	v_lshrrev_b32_e32 v6, 2, v6
	v_cmp_lt_i32_e64 s1, 5, v12
	v_cmp_eq_u32_e64 s2, 3, v12
	s_wait_alu 0xfffd
	v_cndmask_b32_e64 v4, 0, 1, vcc_lo
	v_cmp_lt_i32_e32 vcc_lo, 5, v11
	v_lshl_or_b32 v2, v2, 9, 0x7c00
	s_delay_alu instid0(VALU_DEP_3)
	v_lshl_or_b32 v4, v4, 9, 0x7c00
	s_or_b32 vcc_lo, s0, vcc_lo
	s_wait_alu 0xfffe
	v_add_co_ci_u32_e32 v9, vcc_lo, 0, v9, vcc_lo
	s_or_b32 vcc_lo, s2, s1
	s_wait_alu 0xfffe
	v_add_co_ci_u32_e32 v6, vcc_lo, 0, v6, vcc_lo
	v_cmp_gt_i32_e32 vcc_lo, 31, v7
	s_wait_alu 0xfffd
	v_cndmask_b32_e32 v9, 0x7c00, v9, vcc_lo
	v_cmp_gt_i32_e32 vcc_lo, 31, v10
	s_wait_alu 0xfffd
	v_cndmask_b32_e32 v6, 0x7c00, v6, vcc_lo
	v_cmp_eq_u32_e32 vcc_lo, 0x40f, v7
	s_wait_alu 0xfffd
	v_cndmask_b32_e32 v2, v9, v2, vcc_lo
	v_cmp_eq_u32_e32 vcc_lo, 0x40f, v10
	s_delay_alu instid0(VALU_DEP_2)
	v_and_or_b32 v2, 0x8000, v3, v2
	s_wait_alu 0xfffd
	v_cndmask_b32_e32 v4, v6, v4, vcc_lo
	v_add_co_u32 v0, vcc_lo, v0, s4
	s_wait_alu 0xfffd
	v_add_co_ci_u32_e32 v1, vcc_lo, s5, v1, vcc_lo
	s_delay_alu instid0(VALU_DEP_3) | instskip(SKIP_1) | instid1(VALU_DEP_1)
	v_and_or_b32 v3, 0x8000, v5, v4
	v_and_b32_e32 v2, 0xffff, v2
	v_lshl_or_b32 v2, v3, 16, v2
	global_store_b32 v[0:1], v2, off
	global_load_b32 v4, v29, s[8:9] offset:2548
	ds_load_2addr_b32 v[2:3], v8 offset0:125 offset1:174
	s_wait_dscnt 0x0
	v_lshrrev_b32_e32 v5, 16, v2
	s_wait_loadcnt 0x0
	v_lshrrev_b32_e32 v6, 16, v4
	s_delay_alu instid0(VALU_DEP_1) | instskip(SKIP_1) | instid1(VALU_DEP_2)
	v_mul_f16_e32 v7, v5, v6
	v_mul_f16_e32 v6, v2, v6
	v_fmac_f16_e32 v7, v2, v4
	s_delay_alu instid0(VALU_DEP_2) | instskip(NEXT) | instid1(VALU_DEP_2)
	v_fma_f16 v2, v4, v5, -v6
	v_cvt_f32_f16_e32 v4, v7
	s_delay_alu instid0(VALU_DEP_2) | instskip(NEXT) | instid1(VALU_DEP_2)
	v_cvt_f32_f16_e32 v2, v2
	v_cvt_f64_f32_e32 v[4:5], v4
	s_delay_alu instid0(VALU_DEP_2) | instskip(NEXT) | instid1(VALU_DEP_2)
	v_cvt_f64_f32_e32 v[6:7], v2
	v_mul_f64_e32 v[4:5], s[10:11], v[4:5]
	s_delay_alu instid0(VALU_DEP_2) | instskip(NEXT) | instid1(VALU_DEP_2)
	v_mul_f64_e32 v[6:7], s[10:11], v[6:7]
	v_and_or_b32 v2, 0x1ff, v5, v4
	s_delay_alu instid0(VALU_DEP_2)
	v_and_or_b32 v6, 0x1ff, v7, v6
	v_lshrrev_b32_e32 v4, 8, v5
	v_bfe_u32 v8, v5, 20, 11
	v_lshrrev_b32_e32 v9, 8, v7
	v_cmp_ne_u32_e32 vcc_lo, 0, v2
	v_bfe_u32 v10, v7, 20, 11
	v_lshrrev_b32_e32 v5, 16, v5
	v_sub_nc_u32_e32 v11, 0x3f1, v8
	v_add_nc_u32_e32 v8, 0xfffffc10, v8
	s_wait_alu 0xfffd
	v_cndmask_b32_e64 v2, 0, 1, vcc_lo
	v_cmp_ne_u32_e32 vcc_lo, 0, v6
	v_lshrrev_b32_e32 v7, 16, v7
	s_delay_alu instid0(VALU_DEP_3) | instskip(SKIP_4) | instid1(VALU_DEP_3)
	v_and_or_b32 v2, 0xffe, v4, v2
	s_wait_alu 0xfffd
	v_cndmask_b32_e64 v6, 0, 1, vcc_lo
	v_sub_nc_u32_e32 v4, 0x3f1, v10
	v_add_nc_u32_e32 v10, 0xfffffc10, v10
	v_and_or_b32 v6, 0xffe, v9, v6
	v_med3_i32 v9, v11, 0, 13
	v_or_b32_e32 v11, 0x1000, v2
	v_med3_i32 v4, v4, 0, 13
	s_delay_alu instid0(VALU_DEP_4) | instskip(NEXT) | instid1(VALU_DEP_3)
	v_or_b32_e32 v12, 0x1000, v6
	v_lshrrev_b32_e32 v13, v9, v11
	s_delay_alu instid0(VALU_DEP_2) | instskip(NEXT) | instid1(VALU_DEP_2)
	v_lshrrev_b32_e32 v14, v4, v12
	v_lshlrev_b32_e32 v9, v9, v13
	s_delay_alu instid0(VALU_DEP_2) | instskip(NEXT) | instid1(VALU_DEP_2)
	v_lshlrev_b32_e32 v4, v4, v14
	v_cmp_ne_u32_e32 vcc_lo, v9, v11
	v_lshl_or_b32 v11, v8, 12, v2
	s_wait_alu 0xfffd
	v_cndmask_b32_e64 v9, 0, 1, vcc_lo
	v_cmp_ne_u32_e32 vcc_lo, v4, v12
	v_lshl_or_b32 v12, v10, 12, v6
	s_delay_alu instid0(VALU_DEP_3) | instskip(SKIP_3) | instid1(VALU_DEP_2)
	v_or_b32_e32 v9, v13, v9
	s_wait_alu 0xfffd
	v_cndmask_b32_e64 v4, 0, 1, vcc_lo
	v_cmp_gt_i32_e32 vcc_lo, 1, v8
	v_or_b32_e32 v4, v14, v4
	s_wait_alu 0xfffd
	v_cndmask_b32_e32 v9, v11, v9, vcc_lo
	v_cmp_gt_i32_e32 vcc_lo, 1, v10
	s_wait_alu 0xfffd
	s_delay_alu instid0(VALU_DEP_2) | instskip(SKIP_2) | instid1(VALU_DEP_3)
	v_dual_cndmask_b32 v4, v12, v4 :: v_dual_and_b32 v11, 7, v9
	v_cmp_ne_u32_e32 vcc_lo, 0, v2
	v_lshrrev_b32_e32 v9, 2, v9
	v_cmp_eq_u32_e64 s0, 3, v11
	s_delay_alu instid0(VALU_DEP_4)
	v_and_b32_e32 v12, 7, v4
	s_wait_alu 0xfffd
	v_cndmask_b32_e64 v2, 0, 1, vcc_lo
	v_cmp_ne_u32_e32 vcc_lo, 0, v6
	v_lshrrev_b32_e32 v4, 2, v4
	v_cmp_lt_i32_e64 s1, 5, v12
	v_cmp_eq_u32_e64 s2, 3, v12
	s_wait_alu 0xfffd
	v_cndmask_b32_e64 v6, 0, 1, vcc_lo
	v_cmp_lt_i32_e32 vcc_lo, 5, v11
	v_lshl_or_b32 v2, v2, 9, 0x7c00
	s_delay_alu instid0(VALU_DEP_3)
	v_lshl_or_b32 v6, v6, 9, 0x7c00
	s_or_b32 vcc_lo, s0, vcc_lo
	s_wait_alu 0xfffe
	v_add_co_ci_u32_e32 v9, vcc_lo, 0, v9, vcc_lo
	s_or_b32 vcc_lo, s2, s1
	s_wait_alu 0xfffe
	v_add_co_ci_u32_e32 v4, vcc_lo, 0, v4, vcc_lo
	v_cmp_gt_i32_e32 vcc_lo, 31, v8
	s_wait_alu 0xfffd
	v_cndmask_b32_e32 v9, 0x7c00, v9, vcc_lo
	v_cmp_gt_i32_e32 vcc_lo, 31, v10
	s_wait_alu 0xfffd
	v_cndmask_b32_e32 v4, 0x7c00, v4, vcc_lo
	v_cmp_eq_u32_e32 vcc_lo, 0x40f, v8
	s_wait_alu 0xfffd
	v_cndmask_b32_e32 v2, v9, v2, vcc_lo
	v_cmp_eq_u32_e32 vcc_lo, 0x40f, v10
	s_delay_alu instid0(VALU_DEP_2)
	v_and_or_b32 v2, 0x8000, v5, v2
	s_wait_alu 0xfffd
	v_cndmask_b32_e32 v4, v4, v6, vcc_lo
	v_add_co_u32 v0, vcc_lo, v0, s4
	s_wait_alu 0xfffd
	v_add_co_ci_u32_e32 v1, vcc_lo, s5, v1, vcc_lo
	s_delay_alu instid0(VALU_DEP_3) | instskip(SKIP_1) | instid1(VALU_DEP_1)
	v_and_or_b32 v4, 0x8000, v7, v4
	v_and_b32_e32 v2, 0xffff, v2
	v_lshl_or_b32 v2, v4, 16, v2
	v_lshrrev_b32_e32 v4, 16, v3
	global_store_b32 v[0:1], v2, off
	global_load_b32 v2, v29, s[8:9] offset:2744
	s_wait_loadcnt 0x0
	v_lshrrev_b32_e32 v5, 16, v2
	s_delay_alu instid0(VALU_DEP_1) | instskip(SKIP_1) | instid1(VALU_DEP_2)
	v_mul_f16_e32 v6, v4, v5
	v_mul_f16_e32 v5, v3, v5
	v_fmac_f16_e32 v6, v3, v2
	s_delay_alu instid0(VALU_DEP_2) | instskip(NEXT) | instid1(VALU_DEP_2)
	v_fma_f16 v2, v2, v4, -v5
	v_cvt_f32_f16_e32 v3, v6
	s_delay_alu instid0(VALU_DEP_2) | instskip(NEXT) | instid1(VALU_DEP_2)
	v_cvt_f32_f16_e32 v4, v2
	v_cvt_f64_f32_e32 v[2:3], v3
	s_delay_alu instid0(VALU_DEP_2) | instskip(NEXT) | instid1(VALU_DEP_2)
	v_cvt_f64_f32_e32 v[4:5], v4
	v_mul_f64_e32 v[2:3], s[10:11], v[2:3]
	s_delay_alu instid0(VALU_DEP_2) | instskip(NEXT) | instid1(VALU_DEP_2)
	v_mul_f64_e32 v[4:5], s[10:11], v[4:5]
	v_and_or_b32 v2, 0x1ff, v3, v2
	s_delay_alu instid0(VALU_DEP_2)
	v_and_or_b32 v4, 0x1ff, v5, v4
	v_lshrrev_b32_e32 v6, 8, v3
	v_bfe_u32 v7, v3, 20, 11
	v_lshrrev_b32_e32 v8, 8, v5
	v_cmp_ne_u32_e32 vcc_lo, 0, v2
	v_bfe_u32 v9, v5, 20, 11
	v_lshrrev_b32_e32 v3, 16, v3
	v_sub_nc_u32_e32 v10, 0x3f1, v7
	v_add_nc_u32_e32 v7, 0xfffffc10, v7
	s_wait_alu 0xfffd
	v_cndmask_b32_e64 v2, 0, 1, vcc_lo
	v_cmp_ne_u32_e32 vcc_lo, 0, v4
	v_lshrrev_b32_e32 v5, 16, v5
	s_delay_alu instid0(VALU_DEP_3) | instskip(SKIP_4) | instid1(VALU_DEP_3)
	v_and_or_b32 v2, 0xffe, v6, v2
	s_wait_alu 0xfffd
	v_cndmask_b32_e64 v4, 0, 1, vcc_lo
	v_sub_nc_u32_e32 v6, 0x3f1, v9
	v_add_nc_u32_e32 v9, 0xfffffc10, v9
	v_and_or_b32 v4, 0xffe, v8, v4
	v_med3_i32 v8, v10, 0, 13
	v_or_b32_e32 v10, 0x1000, v2
	v_med3_i32 v6, v6, 0, 13
	s_delay_alu instid0(VALU_DEP_4) | instskip(NEXT) | instid1(VALU_DEP_3)
	v_or_b32_e32 v11, 0x1000, v4
	v_lshrrev_b32_e32 v12, v8, v10
	s_delay_alu instid0(VALU_DEP_2) | instskip(NEXT) | instid1(VALU_DEP_2)
	v_lshrrev_b32_e32 v13, v6, v11
	v_lshlrev_b32_e32 v8, v8, v12
	s_delay_alu instid0(VALU_DEP_2) | instskip(NEXT) | instid1(VALU_DEP_2)
	v_lshlrev_b32_e32 v6, v6, v13
	v_cmp_ne_u32_e32 vcc_lo, v8, v10
	v_lshl_or_b32 v10, v7, 12, v2
	s_wait_alu 0xfffd
	v_cndmask_b32_e64 v8, 0, 1, vcc_lo
	v_cmp_ne_u32_e32 vcc_lo, v6, v11
	v_lshl_or_b32 v11, v9, 12, v4
	s_delay_alu instid0(VALU_DEP_3) | instskip(SKIP_3) | instid1(VALU_DEP_2)
	v_or_b32_e32 v8, v12, v8
	s_wait_alu 0xfffd
	v_cndmask_b32_e64 v6, 0, 1, vcc_lo
	v_cmp_gt_i32_e32 vcc_lo, 1, v7
	v_or_b32_e32 v6, v13, v6
	s_wait_alu 0xfffd
	v_cndmask_b32_e32 v8, v10, v8, vcc_lo
	v_cmp_gt_i32_e32 vcc_lo, 1, v9
	s_delay_alu instid0(VALU_DEP_2)
	v_and_b32_e32 v10, 7, v8
	s_wait_alu 0xfffd
	v_cndmask_b32_e32 v6, v11, v6, vcc_lo
	v_cmp_ne_u32_e32 vcc_lo, 0, v2
	v_lshrrev_b32_e32 v8, 2, v8
	v_cmp_eq_u32_e64 s0, 3, v10
	s_delay_alu instid0(VALU_DEP_4)
	v_and_b32_e32 v11, 7, v6
	s_wait_alu 0xfffd
	v_cndmask_b32_e64 v2, 0, 1, vcc_lo
	v_cmp_ne_u32_e32 vcc_lo, 0, v4
	v_lshrrev_b32_e32 v6, 2, v6
	v_cmp_lt_i32_e64 s1, 5, v11
	v_cmp_eq_u32_e64 s2, 3, v11
	s_wait_alu 0xfffd
	v_cndmask_b32_e64 v4, 0, 1, vcc_lo
	v_cmp_lt_i32_e32 vcc_lo, 5, v10
	v_lshl_or_b32 v2, v2, 9, 0x7c00
	s_delay_alu instid0(VALU_DEP_3)
	v_lshl_or_b32 v4, v4, 9, 0x7c00
	s_or_b32 vcc_lo, s0, vcc_lo
	s_wait_alu 0xfffe
	v_add_co_ci_u32_e32 v8, vcc_lo, 0, v8, vcc_lo
	s_or_b32 vcc_lo, s2, s1
	s_wait_alu 0xfffe
	v_add_co_ci_u32_e32 v6, vcc_lo, 0, v6, vcc_lo
	v_cmp_gt_i32_e32 vcc_lo, 31, v7
	s_wait_alu 0xfffd
	v_cndmask_b32_e32 v8, 0x7c00, v8, vcc_lo
	v_cmp_gt_i32_e32 vcc_lo, 31, v9
	s_wait_alu 0xfffd
	v_cndmask_b32_e32 v6, 0x7c00, v6, vcc_lo
	v_cmp_eq_u32_e32 vcc_lo, 0x40f, v7
	s_wait_alu 0xfffd
	v_cndmask_b32_e32 v2, v8, v2, vcc_lo
	v_cmp_eq_u32_e32 vcc_lo, 0x40f, v9
	s_delay_alu instid0(VALU_DEP_2)
	v_and_or_b32 v2, 0x8000, v3, v2
	s_wait_alu 0xfffd
	v_cndmask_b32_e32 v4, v6, v4, vcc_lo
	v_add_co_u32 v0, vcc_lo, v0, s4
	s_wait_alu 0xfffd
	v_add_co_ci_u32_e32 v1, vcc_lo, s5, v1, vcc_lo
	s_delay_alu instid0(VALU_DEP_3) | instskip(SKIP_1) | instid1(VALU_DEP_1)
	v_and_or_b32 v3, 0x8000, v5, v4
	v_and_b32_e32 v2, 0xffff, v2
	v_lshl_or_b32 v2, v3, 16, v2
	global_store_b32 v[0:1], v2, off
	global_load_b32 v4, v29, s[8:9] offset:2940
	v_add_nc_u32_e32 v2, 0xa00, v29
	ds_load_2addr_b32 v[2:3], v2 offset0:95 offset1:144
	s_wait_dscnt 0x0
	v_lshrrev_b32_e32 v5, 16, v2
	s_wait_loadcnt 0x0
	v_lshrrev_b32_e32 v6, 16, v4
	s_delay_alu instid0(VALU_DEP_1) | instskip(SKIP_1) | instid1(VALU_DEP_2)
	v_mul_f16_e32 v7, v5, v6
	v_mul_f16_e32 v6, v2, v6
	v_fmac_f16_e32 v7, v2, v4
	s_delay_alu instid0(VALU_DEP_2) | instskip(NEXT) | instid1(VALU_DEP_2)
	v_fma_f16 v2, v4, v5, -v6
	v_cvt_f32_f16_e32 v4, v7
	s_delay_alu instid0(VALU_DEP_2) | instskip(NEXT) | instid1(VALU_DEP_2)
	v_cvt_f32_f16_e32 v2, v2
	v_cvt_f64_f32_e32 v[4:5], v4
	s_delay_alu instid0(VALU_DEP_2) | instskip(NEXT) | instid1(VALU_DEP_2)
	v_cvt_f64_f32_e32 v[6:7], v2
	v_mul_f64_e32 v[4:5], s[10:11], v[4:5]
	s_delay_alu instid0(VALU_DEP_2) | instskip(NEXT) | instid1(VALU_DEP_2)
	v_mul_f64_e32 v[6:7], s[10:11], v[6:7]
	v_and_or_b32 v2, 0x1ff, v5, v4
	s_delay_alu instid0(VALU_DEP_2)
	v_and_or_b32 v6, 0x1ff, v7, v6
	v_lshrrev_b32_e32 v4, 8, v5
	v_bfe_u32 v8, v5, 20, 11
	v_lshrrev_b32_e32 v9, 8, v7
	v_cmp_ne_u32_e32 vcc_lo, 0, v2
	v_bfe_u32 v10, v7, 20, 11
	v_lshrrev_b32_e32 v5, 16, v5
	v_sub_nc_u32_e32 v11, 0x3f1, v8
	v_add_nc_u32_e32 v8, 0xfffffc10, v8
	s_wait_alu 0xfffd
	v_cndmask_b32_e64 v2, 0, 1, vcc_lo
	v_cmp_ne_u32_e32 vcc_lo, 0, v6
	v_lshrrev_b32_e32 v7, 16, v7
	s_delay_alu instid0(VALU_DEP_3) | instskip(SKIP_4) | instid1(VALU_DEP_3)
	v_and_or_b32 v2, 0xffe, v4, v2
	s_wait_alu 0xfffd
	v_cndmask_b32_e64 v6, 0, 1, vcc_lo
	v_sub_nc_u32_e32 v4, 0x3f1, v10
	v_add_nc_u32_e32 v10, 0xfffffc10, v10
	v_and_or_b32 v6, 0xffe, v9, v6
	v_med3_i32 v9, v11, 0, 13
	v_or_b32_e32 v11, 0x1000, v2
	v_med3_i32 v4, v4, 0, 13
	s_delay_alu instid0(VALU_DEP_4) | instskip(NEXT) | instid1(VALU_DEP_3)
	v_or_b32_e32 v12, 0x1000, v6
	v_lshrrev_b32_e32 v13, v9, v11
	s_delay_alu instid0(VALU_DEP_2) | instskip(NEXT) | instid1(VALU_DEP_2)
	v_lshrrev_b32_e32 v14, v4, v12
	v_lshlrev_b32_e32 v9, v9, v13
	s_delay_alu instid0(VALU_DEP_2) | instskip(NEXT) | instid1(VALU_DEP_2)
	v_lshlrev_b32_e32 v4, v4, v14
	v_cmp_ne_u32_e32 vcc_lo, v9, v11
	v_lshl_or_b32 v11, v8, 12, v2
	s_wait_alu 0xfffd
	v_cndmask_b32_e64 v9, 0, 1, vcc_lo
	v_cmp_ne_u32_e32 vcc_lo, v4, v12
	v_lshl_or_b32 v12, v10, 12, v6
	s_delay_alu instid0(VALU_DEP_3) | instskip(SKIP_3) | instid1(VALU_DEP_2)
	v_or_b32_e32 v9, v13, v9
	s_wait_alu 0xfffd
	v_cndmask_b32_e64 v4, 0, 1, vcc_lo
	v_cmp_gt_i32_e32 vcc_lo, 1, v8
	v_or_b32_e32 v4, v14, v4
	s_wait_alu 0xfffd
	v_cndmask_b32_e32 v9, v11, v9, vcc_lo
	v_cmp_gt_i32_e32 vcc_lo, 1, v10
	s_wait_alu 0xfffd
	s_delay_alu instid0(VALU_DEP_2) | instskip(SKIP_2) | instid1(VALU_DEP_3)
	v_dual_cndmask_b32 v4, v12, v4 :: v_dual_and_b32 v11, 7, v9
	v_cmp_ne_u32_e32 vcc_lo, 0, v2
	v_lshrrev_b32_e32 v9, 2, v9
	v_cmp_eq_u32_e64 s0, 3, v11
	s_delay_alu instid0(VALU_DEP_4)
	v_and_b32_e32 v12, 7, v4
	s_wait_alu 0xfffd
	v_cndmask_b32_e64 v2, 0, 1, vcc_lo
	v_cmp_ne_u32_e32 vcc_lo, 0, v6
	v_lshrrev_b32_e32 v4, 2, v4
	v_cmp_lt_i32_e64 s1, 5, v12
	v_cmp_eq_u32_e64 s2, 3, v12
	s_wait_alu 0xfffd
	v_cndmask_b32_e64 v6, 0, 1, vcc_lo
	v_cmp_lt_i32_e32 vcc_lo, 5, v11
	v_lshl_or_b32 v2, v2, 9, 0x7c00
	s_delay_alu instid0(VALU_DEP_3)
	v_lshl_or_b32 v6, v6, 9, 0x7c00
	s_or_b32 vcc_lo, s0, vcc_lo
	s_wait_alu 0xfffe
	v_add_co_ci_u32_e32 v9, vcc_lo, 0, v9, vcc_lo
	s_or_b32 vcc_lo, s2, s1
	s_wait_alu 0xfffe
	v_add_co_ci_u32_e32 v4, vcc_lo, 0, v4, vcc_lo
	v_cmp_gt_i32_e32 vcc_lo, 31, v8
	s_wait_alu 0xfffd
	v_cndmask_b32_e32 v9, 0x7c00, v9, vcc_lo
	v_cmp_gt_i32_e32 vcc_lo, 31, v10
	s_wait_alu 0xfffd
	v_cndmask_b32_e32 v4, 0x7c00, v4, vcc_lo
	v_cmp_eq_u32_e32 vcc_lo, 0x40f, v8
	s_wait_alu 0xfffd
	v_cndmask_b32_e32 v2, v9, v2, vcc_lo
	v_cmp_eq_u32_e32 vcc_lo, 0x40f, v10
	s_delay_alu instid0(VALU_DEP_2)
	v_and_or_b32 v2, 0x8000, v5, v2
	s_wait_alu 0xfffd
	v_cndmask_b32_e32 v4, v4, v6, vcc_lo
	v_add_co_u32 v0, vcc_lo, v0, s4
	s_wait_alu 0xfffd
	v_add_co_ci_u32_e32 v1, vcc_lo, s5, v1, vcc_lo
	s_delay_alu instid0(VALU_DEP_3) | instskip(SKIP_1) | instid1(VALU_DEP_1)
	v_and_or_b32 v4, 0x8000, v7, v4
	v_and_b32_e32 v2, 0xffff, v2
	v_lshl_or_b32 v2, v4, 16, v2
	v_lshrrev_b32_e32 v4, 16, v3
	global_store_b32 v[0:1], v2, off
	global_load_b32 v2, v29, s[8:9] offset:3136
	s_wait_loadcnt 0x0
	v_lshrrev_b32_e32 v5, 16, v2
	s_delay_alu instid0(VALU_DEP_1) | instskip(SKIP_1) | instid1(VALU_DEP_2)
	v_mul_f16_e32 v6, v4, v5
	v_mul_f16_e32 v5, v3, v5
	v_fmac_f16_e32 v6, v3, v2
	s_delay_alu instid0(VALU_DEP_2) | instskip(NEXT) | instid1(VALU_DEP_2)
	v_fma_f16 v2, v2, v4, -v5
	v_cvt_f32_f16_e32 v3, v6
	s_delay_alu instid0(VALU_DEP_2) | instskip(NEXT) | instid1(VALU_DEP_2)
	v_cvt_f32_f16_e32 v4, v2
	v_cvt_f64_f32_e32 v[2:3], v3
	s_delay_alu instid0(VALU_DEP_2) | instskip(NEXT) | instid1(VALU_DEP_2)
	v_cvt_f64_f32_e32 v[4:5], v4
	v_mul_f64_e32 v[2:3], s[10:11], v[2:3]
	s_delay_alu instid0(VALU_DEP_2) | instskip(NEXT) | instid1(VALU_DEP_2)
	v_mul_f64_e32 v[4:5], s[10:11], v[4:5]
	v_and_or_b32 v2, 0x1ff, v3, v2
	s_delay_alu instid0(VALU_DEP_2)
	v_and_or_b32 v4, 0x1ff, v5, v4
	v_lshrrev_b32_e32 v6, 8, v3
	v_bfe_u32 v7, v3, 20, 11
	v_lshrrev_b32_e32 v8, 8, v5
	v_cmp_ne_u32_e32 vcc_lo, 0, v2
	v_bfe_u32 v9, v5, 20, 11
	v_lshrrev_b32_e32 v3, 16, v3
	v_sub_nc_u32_e32 v10, 0x3f1, v7
	v_add_nc_u32_e32 v7, 0xfffffc10, v7
	s_wait_alu 0xfffd
	v_cndmask_b32_e64 v2, 0, 1, vcc_lo
	v_cmp_ne_u32_e32 vcc_lo, 0, v4
	v_lshrrev_b32_e32 v5, 16, v5
	s_delay_alu instid0(VALU_DEP_3) | instskip(SKIP_4) | instid1(VALU_DEP_3)
	v_and_or_b32 v2, 0xffe, v6, v2
	s_wait_alu 0xfffd
	v_cndmask_b32_e64 v4, 0, 1, vcc_lo
	v_sub_nc_u32_e32 v6, 0x3f1, v9
	v_add_nc_u32_e32 v9, 0xfffffc10, v9
	v_and_or_b32 v4, 0xffe, v8, v4
	v_med3_i32 v8, v10, 0, 13
	v_or_b32_e32 v10, 0x1000, v2
	v_med3_i32 v6, v6, 0, 13
	s_delay_alu instid0(VALU_DEP_4) | instskip(NEXT) | instid1(VALU_DEP_3)
	v_or_b32_e32 v11, 0x1000, v4
	v_lshrrev_b32_e32 v12, v8, v10
	s_delay_alu instid0(VALU_DEP_2) | instskip(NEXT) | instid1(VALU_DEP_2)
	v_lshrrev_b32_e32 v13, v6, v11
	v_lshlrev_b32_e32 v8, v8, v12
	s_delay_alu instid0(VALU_DEP_2) | instskip(NEXT) | instid1(VALU_DEP_2)
	v_lshlrev_b32_e32 v6, v6, v13
	v_cmp_ne_u32_e32 vcc_lo, v8, v10
	v_lshl_or_b32 v10, v7, 12, v2
	s_wait_alu 0xfffd
	v_cndmask_b32_e64 v8, 0, 1, vcc_lo
	v_cmp_ne_u32_e32 vcc_lo, v6, v11
	v_lshl_or_b32 v11, v9, 12, v4
	s_delay_alu instid0(VALU_DEP_3) | instskip(SKIP_3) | instid1(VALU_DEP_2)
	v_or_b32_e32 v8, v12, v8
	s_wait_alu 0xfffd
	v_cndmask_b32_e64 v6, 0, 1, vcc_lo
	v_cmp_gt_i32_e32 vcc_lo, 1, v7
	v_or_b32_e32 v6, v13, v6
	s_wait_alu 0xfffd
	v_cndmask_b32_e32 v8, v10, v8, vcc_lo
	v_cmp_gt_i32_e32 vcc_lo, 1, v9
	s_delay_alu instid0(VALU_DEP_2)
	v_and_b32_e32 v10, 7, v8
	s_wait_alu 0xfffd
	v_cndmask_b32_e32 v6, v11, v6, vcc_lo
	v_cmp_ne_u32_e32 vcc_lo, 0, v2
	v_lshrrev_b32_e32 v8, 2, v8
	v_cmp_eq_u32_e64 s0, 3, v10
	s_delay_alu instid0(VALU_DEP_4)
	v_and_b32_e32 v11, 7, v6
	s_wait_alu 0xfffd
	v_cndmask_b32_e64 v2, 0, 1, vcc_lo
	v_cmp_ne_u32_e32 vcc_lo, 0, v4
	v_lshrrev_b32_e32 v6, 2, v6
	v_cmp_lt_i32_e64 s1, 5, v11
	v_cmp_eq_u32_e64 s2, 3, v11
	s_wait_alu 0xfffd
	v_cndmask_b32_e64 v4, 0, 1, vcc_lo
	v_cmp_lt_i32_e32 vcc_lo, 5, v10
	v_lshl_or_b32 v2, v2, 9, 0x7c00
	s_delay_alu instid0(VALU_DEP_3)
	v_lshl_or_b32 v4, v4, 9, 0x7c00
	s_or_b32 vcc_lo, s0, vcc_lo
	s_wait_alu 0xfffe
	v_add_co_ci_u32_e32 v8, vcc_lo, 0, v8, vcc_lo
	s_or_b32 vcc_lo, s2, s1
	s_wait_alu 0xfffe
	v_add_co_ci_u32_e32 v6, vcc_lo, 0, v6, vcc_lo
	v_cmp_gt_i32_e32 vcc_lo, 31, v7
	s_wait_alu 0xfffd
	v_cndmask_b32_e32 v8, 0x7c00, v8, vcc_lo
	v_cmp_gt_i32_e32 vcc_lo, 31, v9
	s_wait_alu 0xfffd
	v_cndmask_b32_e32 v6, 0x7c00, v6, vcc_lo
	v_cmp_eq_u32_e32 vcc_lo, 0x40f, v7
	s_wait_alu 0xfffd
	v_cndmask_b32_e32 v2, v8, v2, vcc_lo
	v_cmp_eq_u32_e32 vcc_lo, 0x40f, v9
	s_delay_alu instid0(VALU_DEP_2)
	v_and_or_b32 v2, 0x8000, v3, v2
	s_wait_alu 0xfffd
	v_cndmask_b32_e32 v4, v6, v4, vcc_lo
	v_add_co_u32 v0, vcc_lo, v0, s4
	s_wait_alu 0xfffd
	v_add_co_ci_u32_e32 v1, vcc_lo, s5, v1, vcc_lo
	s_delay_alu instid0(VALU_DEP_3) | instskip(SKIP_1) | instid1(VALU_DEP_1)
	v_and_or_b32 v3, 0x8000, v5, v4
	v_and_b32_e32 v2, 0xffff, v2
	v_lshl_or_b32 v2, v3, 16, v2
	global_store_b32 v[0:1], v2, off
.LBB0_15:
	s_nop 0
	s_sendmsg sendmsg(MSG_DEALLOC_VGPRS)
	s_endpgm
	.section	.rodata,"a",@progbits
	.p2align	6, 0x0
	.amdhsa_kernel bluestein_single_back_len833_dim1_half_op_CI_CI
		.amdhsa_group_segment_fixed_size 3332
		.amdhsa_private_segment_fixed_size 0
		.amdhsa_kernarg_size 104
		.amdhsa_user_sgpr_count 2
		.amdhsa_user_sgpr_dispatch_ptr 0
		.amdhsa_user_sgpr_queue_ptr 0
		.amdhsa_user_sgpr_kernarg_segment_ptr 1
		.amdhsa_user_sgpr_dispatch_id 0
		.amdhsa_user_sgpr_private_segment_size 0
		.amdhsa_wavefront_size32 1
		.amdhsa_uses_dynamic_stack 0
		.amdhsa_enable_private_segment 0
		.amdhsa_system_sgpr_workgroup_id_x 1
		.amdhsa_system_sgpr_workgroup_id_y 0
		.amdhsa_system_sgpr_workgroup_id_z 0
		.amdhsa_system_sgpr_workgroup_info 0
		.amdhsa_system_vgpr_workitem_id 0
		.amdhsa_next_free_vgpr 227
		.amdhsa_next_free_sgpr 14
		.amdhsa_reserve_vcc 1
		.amdhsa_float_round_mode_32 0
		.amdhsa_float_round_mode_16_64 0
		.amdhsa_float_denorm_mode_32 3
		.amdhsa_float_denorm_mode_16_64 3
		.amdhsa_fp16_overflow 0
		.amdhsa_workgroup_processor_mode 1
		.amdhsa_memory_ordered 1
		.amdhsa_forward_progress 0
		.amdhsa_round_robin_scheduling 0
		.amdhsa_exception_fp_ieee_invalid_op 0
		.amdhsa_exception_fp_denorm_src 0
		.amdhsa_exception_fp_ieee_div_zero 0
		.amdhsa_exception_fp_ieee_overflow 0
		.amdhsa_exception_fp_ieee_underflow 0
		.amdhsa_exception_fp_ieee_inexact 0
		.amdhsa_exception_int_div_zero 0
	.end_amdhsa_kernel
	.text
.Lfunc_end0:
	.size	bluestein_single_back_len833_dim1_half_op_CI_CI, .Lfunc_end0-bluestein_single_back_len833_dim1_half_op_CI_CI
                                        ; -- End function
	.section	.AMDGPU.csdata,"",@progbits
; Kernel info:
; codeLenInByte = 31380
; NumSgprs: 16
; NumVgprs: 227
; ScratchSize: 0
; MemoryBound: 0
; FloatMode: 240
; IeeeMode: 1
; LDSByteSize: 3332 bytes/workgroup (compile time only)
; SGPRBlocks: 1
; VGPRBlocks: 28
; NumSGPRsForWavesPerEU: 16
; NumVGPRsForWavesPerEU: 227
; Occupancy: 6
; WaveLimiterHint : 1
; COMPUTE_PGM_RSRC2:SCRATCH_EN: 0
; COMPUTE_PGM_RSRC2:USER_SGPR: 2
; COMPUTE_PGM_RSRC2:TRAP_HANDLER: 0
; COMPUTE_PGM_RSRC2:TGID_X_EN: 1
; COMPUTE_PGM_RSRC2:TGID_Y_EN: 0
; COMPUTE_PGM_RSRC2:TGID_Z_EN: 0
; COMPUTE_PGM_RSRC2:TIDIG_COMP_CNT: 0
	.text
	.p2alignl 7, 3214868480
	.fill 96, 4, 3214868480
	.type	__hip_cuid_1e8cdc1a7d1010a,@object ; @__hip_cuid_1e8cdc1a7d1010a
	.section	.bss,"aw",@nobits
	.globl	__hip_cuid_1e8cdc1a7d1010a
__hip_cuid_1e8cdc1a7d1010a:
	.byte	0                               ; 0x0
	.size	__hip_cuid_1e8cdc1a7d1010a, 1

	.ident	"AMD clang version 19.0.0git (https://github.com/RadeonOpenCompute/llvm-project roc-6.4.0 25133 c7fe45cf4b819c5991fe208aaa96edf142730f1d)"
	.section	".note.GNU-stack","",@progbits
	.addrsig
	.addrsig_sym __hip_cuid_1e8cdc1a7d1010a
	.amdgpu_metadata
---
amdhsa.kernels:
  - .args:
      - .actual_access:  read_only
        .address_space:  global
        .offset:         0
        .size:           8
        .value_kind:     global_buffer
      - .actual_access:  read_only
        .address_space:  global
        .offset:         8
        .size:           8
        .value_kind:     global_buffer
      - .actual_access:  read_only
        .address_space:  global
        .offset:         16
        .size:           8
        .value_kind:     global_buffer
      - .actual_access:  read_only
        .address_space:  global
        .offset:         24
        .size:           8
        .value_kind:     global_buffer
      - .actual_access:  read_only
        .address_space:  global
        .offset:         32
        .size:           8
        .value_kind:     global_buffer
      - .offset:         40
        .size:           8
        .value_kind:     by_value
      - .address_space:  global
        .offset:         48
        .size:           8
        .value_kind:     global_buffer
      - .address_space:  global
        .offset:         56
        .size:           8
        .value_kind:     global_buffer
      - .address_space:  global
        .offset:         64
        .size:           8
        .value_kind:     global_buffer
      - .address_space:  global
        .offset:         72
        .size:           8
        .value_kind:     global_buffer
      - .offset:         80
        .size:           4
        .value_kind:     by_value
      - .address_space:  global
        .offset:         88
        .size:           8
        .value_kind:     global_buffer
      - .address_space:  global
        .offset:         96
        .size:           8
        .value_kind:     global_buffer
    .group_segment_fixed_size: 3332
    .kernarg_segment_align: 8
    .kernarg_segment_size: 104
    .language:       OpenCL C
    .language_version:
      - 2
      - 0
    .max_flat_workgroup_size: 119
    .name:           bluestein_single_back_len833_dim1_half_op_CI_CI
    .private_segment_fixed_size: 0
    .sgpr_count:     16
    .sgpr_spill_count: 0
    .symbol:         bluestein_single_back_len833_dim1_half_op_CI_CI.kd
    .uniform_work_group_size: 1
    .uses_dynamic_stack: false
    .vgpr_count:     227
    .vgpr_spill_count: 0
    .wavefront_size: 32
    .workgroup_processor_mode: 1
amdhsa.target:   amdgcn-amd-amdhsa--gfx1201
amdhsa.version:
  - 1
  - 2
...

	.end_amdgpu_metadata
